;; amdgpu-corpus repo=ROCm/rocFFT kind=compiled arch=gfx1030 opt=O3
	.text
	.amdgcn_target "amdgcn-amd-amdhsa--gfx1030"
	.amdhsa_code_object_version 6
	.protected	bluestein_single_back_len340_dim1_dp_op_CI_CI ; -- Begin function bluestein_single_back_len340_dim1_dp_op_CI_CI
	.globl	bluestein_single_back_len340_dim1_dp_op_CI_CI
	.p2align	8
	.type	bluestein_single_back_len340_dim1_dp_op_CI_CI,@function
bluestein_single_back_len340_dim1_dp_op_CI_CI: ; @bluestein_single_back_len340_dim1_dp_op_CI_CI
; %bb.0:
	s_mov_b64 s[62:63], s[2:3]
	s_mov_b64 s[60:61], s[0:1]
	s_load_dwordx4 s[0:3], s[4:5], 0x28
	v_mul_u32_u24_e32 v1, 0x788, v0
	s_add_u32 s60, s60, s7
	s_addc_u32 s61, s61, 0
	v_lshrrev_b32_e32 v1, 16, v1
	v_mad_u64_u32 v[128:129], null, s6, 3, v[1:2]
	v_mov_b32_e32 v129, 0
                                        ; kill: def $vgpr2 killed $sgpr0 killed $exec
	s_waitcnt lgkmcnt(0)
	v_cmp_gt_u64_e32 vcc_lo, s[0:1], v[128:129]
	s_and_saveexec_b32 s0, vcc_lo
	s_cbranch_execz .LBB0_15
; %bb.1:
	v_mul_hi_u32 v2, 0xaaaaaaab, v128
	v_mul_lo_u16 v1, v1, 34
	s_clause 0x1
	s_load_dwordx2 s[12:13], s[4:5], 0x0
	s_load_dwordx2 s[14:15], s[4:5], 0x38
	v_sub_nc_u16 v0, v0, v1
	v_lshrrev_b32_e32 v2, 1, v2
	v_and_b32_e32 v255, 0xffff, v0
	v_cmp_gt_u16_e32 vcc_lo, 20, v0
	v_lshl_add_u32 v2, v2, 1, v2
	v_or_b32_e32 v0, 0xa0, v255
	v_sub_nc_u32_e32 v1, v128, v2
	buffer_store_dword v0, off, s[60:63], 0 offset:104 ; 4-byte Folded Spill
	v_mul_u32_u24_e32 v183, 0x154, v1
	v_lshlrev_b32_e32 v0, 4, v183
	buffer_store_dword v0, off, s[60:63], 0 ; 4-byte Folded Spill
	v_or_b32_e32 v0, 0x140, v255
	buffer_store_dword v0, off, s[60:63], 0 offset:100 ; 4-byte Folded Spill
	s_and_saveexec_b32 s1, vcc_lo
	s_cbranch_execz .LBB0_3
; %bb.2:
	s_load_dwordx2 s[6:7], s[4:5], 0x18
	v_lshlrev_b32_e32 v155, 4, v255
	v_or_b32_e32 v46, 0xa0, v255
	v_or_b32_e32 v43, 0x140, v255
	s_waitcnt lgkmcnt(0)
	v_add_co_u32 v39, s0, s12, v155
	v_add_co_ci_u32_e64 v40, null, s13, 0, s0
	v_lshlrev_b32_e32 v28, 4, v46
	v_add_co_u32 v68, s0, 0x800, v39
	v_add_co_ci_u32_e64 v69, s0, 0, v40, s0
	v_add_co_u32 v129, s0, 0x1000, v39
	v_add_co_ci_u32_e64 v130, s0, 0, v40, s0
	v_lshlrev_b32_e32 v42, 4, v43
	s_load_dwordx4 s[8:11], s[6:7], 0x0
	s_clause 0x7
	global_load_dwordx4 v[0:3], v155, s[12:13]
	global_load_dwordx4 v[4:7], v155, s[12:13] offset:320
	global_load_dwordx4 v[8:11], v155, s[12:13] offset:640
	;; [unrolled: 1-line block ×5, first 2 shown]
	global_load_dwordx4 v[28:31], v28, s[12:13]
	global_load_dwordx4 v[24:27], v155, s[12:13] offset:1920
	s_waitcnt lgkmcnt(0)
	v_mad_u64_u32 v[32:33], null, s10, v128, 0
	v_mad_u64_u32 v[34:35], null, s8, v255, 0
	s_mul_i32 s6, s9, 0x140
	s_mul_hi_u32 s7, s8, 0x140
	s_mul_i32 s10, s8, 0x140
	s_add_i32 s7, s7, s6
	v_mad_u64_u32 v[36:37], null, s11, v128, v[33:34]
	v_mov_b32_e32 v33, v35
	v_mad_u64_u32 v[37:38], null, s9, v255, v[33:34]
	v_mov_b32_e32 v33, v36
	v_mad_u64_u32 v[38:39], null, s8, v46, 0
	v_lshlrev_b64 v[32:33], 4, v[32:33]
	v_mov_b32_e32 v35, v37
	v_mad_u64_u32 v[36:37], null, s8, v43, 0
	v_lshlrev_b64 v[34:35], 4, v[34:35]
	v_add_co_u32 v44, s0, s2, v32
	v_add_co_ci_u32_e64 v45, s0, s3, v33, s0
	v_mov_b32_e32 v32, v39
	v_add_co_u32 v40, s0, v44, v34
	v_add_co_ci_u32_e64 v41, s0, v45, v35, s0
	v_mov_b32_e32 v33, v37
	v_add_co_u32 v56, s0, v40, s10
	v_add_co_ci_u32_e64 v57, s0, s7, v41, s0
	v_mad_u64_u32 v[34:35], null, s9, v46, v[32:33]
	v_add_co_u32 v72, s0, v56, s10
	v_add_co_ci_u32_e64 v73, s0, s7, v57, s0
	v_add_co_u32 v76, s0, v72, s10
	v_add_co_ci_u32_e64 v77, s0, s7, v73, s0
	v_mad_u64_u32 v[32:33], null, s9, v43, v[33:34]
	v_add_co_u32 v80, s0, v76, s10
	v_add_co_ci_u32_e64 v81, s0, s7, v77, s0
	v_mov_b32_e32 v39, v34
	v_add_co_u32 v84, s0, v80, s10
	v_add_co_ci_u32_e64 v85, s0, s7, v81, s0
	v_mov_b32_e32 v37, v32
	global_load_dwordx4 v[32:35], v42, s[12:13]
	v_add_co_u32 v88, s0, v84, s10
	v_add_co_ci_u32_e64 v89, s0, s7, v85, s0
	v_lshlrev_b64 v[38:39], 4, v[38:39]
	v_add_co_u32 v92, s0, v88, s10
	v_add_co_ci_u32_e64 v93, s0, s7, v89, s0
	v_lshlrev_b64 v[36:37], 4, v[36:37]
	v_add_co_u32 v42, s0, v44, v38
	v_mad_u64_u32 v[96:97], null, 0x280, s8, v[92:93]
	v_add_co_ci_u32_e64 v43, s0, v45, v39, s0
	v_add_co_u32 v52, s0, v44, v36
	v_add_co_ci_u32_e64 v53, s0, v45, v37, s0
	v_mov_b32_e32 v60, v97
	s_clause 0x1
	global_load_dwordx4 v[36:39], v[40:41], off
	global_load_dwordx4 v[40:43], v[42:43], off
	s_clause 0x1
	global_load_dwordx4 v[44:47], v[68:69], off offset:192
	global_load_dwordx4 v[48:51], v[68:69], off offset:832
	s_clause 0x1
	global_load_dwordx4 v[52:55], v[52:53], off
	global_load_dwordx4 v[56:59], v[56:57], off
	v_add_co_u32 v100, s0, v96, s10
	v_mad_u64_u32 v[94:95], null, 0x280, s9, v[60:61]
	s_clause 0x2
	global_load_dwordx4 v[60:63], v[68:69], off offset:1152
	global_load_dwordx4 v[64:67], v[68:69], off offset:1472
	;; [unrolled: 1-line block ×3, first 2 shown]
	s_clause 0x2
	global_load_dwordx4 v[72:75], v[72:73], off
	global_load_dwordx4 v[76:79], v[76:77], off
	;; [unrolled: 1-line block ×5, first 2 shown]
	v_mov_b32_e32 v97, v94
	global_load_dwordx4 v[92:95], v[92:93], off
	v_add_co_ci_u32_e64 v101, s0, s7, v97, s0
	v_add_co_u32 v104, s0, v100, s10
	global_load_dwordx4 v[96:99], v[96:97], off
	v_add_co_ci_u32_e64 v105, s0, s7, v101, s0
	v_add_co_u32 v108, s0, v104, s10
	;; [unrolled: 3-line block ×5, first 2 shown]
	global_load_dwordx4 v[112:115], v[112:113], off
	v_add_co_ci_u32_e64 v134, s0, s7, v125, s0
	s_clause 0x1
	global_load_dwordx4 v[116:119], v[129:130], off offset:64
	global_load_dwordx4 v[120:123], v[129:130], off offset:384
	global_load_dwordx4 v[124:127], v[124:125], off
	global_load_dwordx4 v[129:132], v[129:130], off offset:704
	global_load_dwordx4 v[133:136], v[133:134], off
	s_waitcnt vmcnt(24)
	v_mul_f64 v[137:138], v[38:39], v[2:3]
	v_mul_f64 v[2:3], v[36:37], v[2:3]
	s_waitcnt vmcnt(23)
	v_mul_f64 v[139:140], v[42:43], v[30:31]
	v_mul_f64 v[30:31], v[40:41], v[30:31]
	;; [unrolled: 3-line block ×4, first 2 shown]
	v_mul_f64 v[141:142], v[54:55], v[34:35]
	s_waitcnt vmcnt(14)
	v_mul_f64 v[149:150], v[78:79], v[14:15]
	v_mul_f64 v[14:15], v[76:77], v[14:15]
	s_waitcnt vmcnt(13)
	v_mul_f64 v[153:154], v[82:83], v[18:19]
	v_mul_f64 v[18:19], v[80:81], v[18:19]
	;; [unrolled: 1-line block ×3, first 2 shown]
	v_fma_f64 v[34:35], v[36:37], v[0:1], v[137:138]
	v_fma_f64 v[36:37], v[38:39], v[0:1], -v[2:3]
	v_fma_f64 v[0:1], v[40:41], v[28:29], v[139:140]
	v_fma_f64 v[2:3], v[42:43], v[28:29], -v[30:31]
	s_waitcnt vmcnt(12)
	v_mul_f64 v[42:43], v[86:87], v[22:23]
	v_mul_f64 v[22:23], v[84:85], v[22:23]
	v_fma_f64 v[28:29], v[56:57], v[4:5], v[143:144]
	v_fma_f64 v[30:31], v[58:59], v[4:5], -v[145:146]
	s_waitcnt vmcnt(11)
	v_mul_f64 v[4:5], v[90:91], v[26:27]
	v_mul_f64 v[26:27], v[88:89], v[26:27]
	;; [unrolled: 5-line block ×3, first 2 shown]
	v_fma_f64 v[6:7], v[52:53], v[32:33], v[141:142]
	s_waitcnt vmcnt(9)
	v_mul_f64 v[52:53], v[98:99], v[50:51]
	v_mul_f64 v[50:51], v[96:97], v[50:51]
	s_waitcnt vmcnt(8)
	v_mul_f64 v[56:57], v[102:103], v[62:63]
	v_mul_f64 v[58:59], v[100:101], v[62:63]
	s_waitcnt vmcnt(7)
	v_mul_f64 v[62:63], v[106:107], v[66:67]
	v_mul_f64 v[66:67], v[104:105], v[66:67]
	s_waitcnt vmcnt(6)
	v_mul_f64 v[72:73], v[110:111], v[70:71]
	v_mul_f64 v[70:71], v[108:109], v[70:71]
	v_fma_f64 v[10:11], v[76:77], v[12:13], v[149:150]
	s_waitcnt vmcnt(4)
	v_mul_f64 v[74:75], v[114:115], v[118:119]
	v_mul_f64 v[76:77], v[112:113], v[118:119]
	v_fma_f64 v[12:13], v[78:79], v[12:13], -v[14:15]
	s_waitcnt vmcnt(2)
	v_mul_f64 v[78:79], v[126:127], v[122:123]
	v_mul_f64 v[118:119], v[124:125], v[122:123]
	s_waitcnt vmcnt(0)
	v_mul_f64 v[122:123], v[135:136], v[131:132]
	v_mul_f64 v[131:132], v[133:134], v[131:132]
	v_fma_f64 v[14:15], v[80:81], v[16:17], v[153:154]
	v_fma_f64 v[16:17], v[82:83], v[16:17], -v[18:19]
	v_fma_f64 v[18:19], v[84:85], v[20:21], v[42:43]
	v_fma_f64 v[20:21], v[86:87], v[20:21], -v[22:23]
	;; [unrolled: 2-line block ×8, first 2 shown]
	v_lshlrev_b32_e32 v5, 4, v183
	v_fma_f64 v[64:65], v[112:113], v[116:117], v[74:75]
	v_fma_f64 v[66:67], v[114:115], v[116:117], -v[76:77]
	v_fma_f64 v[68:69], v[124:125], v[120:121], v[78:79]
	v_fma_f64 v[70:71], v[126:127], v[120:121], -v[118:119]
	;; [unrolled: 2-line block ×3, first 2 shown]
	v_fma_f64 v[8:9], v[54:55], v[32:33], -v[151:152]
	v_lshl_add_u32 v4, v255, 4, v5
	v_add_nc_u32_e32 v5, v5, v155
	ds_write_b128 v4, v[34:37]
	ds_write_b128 v5, v[0:3] offset:2560
	ds_write_b128 v5, v[28:31] offset:320
	;; [unrolled: 1-line block ×16, first 2 shown]
.LBB0_3:
	s_or_b32 exec_lo, exec_lo, s1
	s_clause 0x1
	s_load_dwordx2 s[0:1], s[4:5], 0x20
	s_load_dwordx2 s[2:3], s[4:5], 0x8
	s_waitcnt lgkmcnt(0)
	s_waitcnt_vscnt null, 0x0
	s_barrier
	buffer_gl0_inv
                                        ; implicit-def: $vgpr32_vgpr33
                                        ; implicit-def: $vgpr48_vgpr49
                                        ; implicit-def: $vgpr52_vgpr53
                                        ; implicit-def: $vgpr56_vgpr57
                                        ; implicit-def: $vgpr60_vgpr61
                                        ; implicit-def: $vgpr64_vgpr65
                                        ; implicit-def: $vgpr68_vgpr69
                                        ; implicit-def: $vgpr72_vgpr73
                                        ; implicit-def: $vgpr80_vgpr81
                                        ; implicit-def: $vgpr84_vgpr85
                                        ; implicit-def: $vgpr88_vgpr89
                                        ; implicit-def: $vgpr92_vgpr93
                                        ; implicit-def: $vgpr76_vgpr77
                                        ; implicit-def: $vgpr44_vgpr45
                                        ; implicit-def: $vgpr40_vgpr41
                                        ; implicit-def: $vgpr36_vgpr37
                                        ; implicit-def: $vgpr28_vgpr29
	s_and_saveexec_b32 s4, vcc_lo
	s_cbranch_execz .LBB0_5
; %bb.4:
	v_lshlrev_b32_e32 v0, 4, v255
	v_lshl_add_u32 v0, v183, 4, v0
	ds_read_b128 v[32:35], v0
	ds_read_b128 v[48:51], v0 offset:320
	ds_read_b128 v[52:55], v0 offset:640
	;; [unrolled: 1-line block ×16, first 2 shown]
.LBB0_5:
	s_or_b32 exec_lo, exec_lo, s4
	s_waitcnt lgkmcnt(0)
	v_add_f64 v[167:168], v[50:51], -v[30:31]
	v_add_f64 v[195:196], v[48:49], -v[28:29]
	s_mov_b32 s28, 0x5d8e7cdc
	s_mov_b32 s29, 0xbfd71e95
	v_add_f64 v[102:103], v[54:55], -v[38:39]
	v_add_f64 v[169:170], v[52:53], -v[36:37]
	s_mov_b32 s30, 0x2a9d6da3
	s_mov_b32 s31, 0xbfe58eea
	;; [unrolled: 4-line block ×3, first 2 shown]
	v_add_f64 v[179:180], v[48:49], v[28:29]
	v_add_f64 v[187:188], v[50:51], v[30:31]
	s_mov_b32 s4, 0x370991
	s_mov_b32 s5, 0x3fedd6d0
	v_add_f64 v[108:109], v[52:53], v[36:37]
	v_add_f64 v[112:113], v[54:55], v[38:39]
	s_mov_b32 s6, 0x75d4884
	s_mov_b32 s7, 0x3fe7a5f6
	v_add_f64 v[124:125], v[58:59], v[42:43]
	s_mov_b32 s10, 0x2b2883cd
	v_mul_f64 v[0:1], v[167:168], s[28:29]
	v_mul_f64 v[2:3], v[195:196], s[28:29]
	s_mov_b32 s11, 0x3fdc86fa
	v_add_f64 v[100:101], v[62:63], -v[46:47]
	v_mul_f64 v[4:5], v[102:103], s[30:31]
	v_mul_f64 v[6:7], v[169:170], s[30:31]
	v_add_f64 v[185:186], v[60:61], -v[44:45]
	s_mov_b32 s36, 0xeb564b22
	v_mul_f64 v[8:9], v[110:111], s[34:35]
	v_mul_f64 v[12:13], v[171:172], s[34:35]
	s_mov_b32 s37, 0xbfefdd0d
	v_add_f64 v[120:121], v[62:63], v[46:47]
	s_mov_b32 s8, 0x3259b75e
	s_mov_b32 s9, 0x3fb79ee6
	v_add_f64 v[139:140], v[66:67], -v[78:79]
	s_mov_b32 s20, 0x923c349f
	s_mov_b32 s21, 0xbfeec746
	v_add_f64 v[118:119], v[56:57], v[40:41]
	v_add_f64 v[96:97], v[60:61], v[44:45]
	;; [unrolled: 1-line block ×3, first 2 shown]
	s_mov_b32 s16, 0xc61f0d01
	s_mov_b32 s17, 0xbfd183b1
	buffer_store_dword v0, off, s[60:63], 0 offset:236 ; 4-byte Folded Spill
	buffer_store_dword v1, off, s[60:63], 0 offset:240 ; 4-byte Folded Spill
	;; [unrolled: 1-line block ×12, first 2 shown]
	v_mul_f64 v[10:11], v[100:101], s[36:37]
	buffer_store_dword v10, off, s[60:63], 0 offset:108 ; 4-byte Folded Spill
	buffer_store_dword v11, off, s[60:63], 0 offset:112 ; 4-byte Folded Spill
	v_add_f64 v[209:210], v[64:65], -v[76:77]
	v_add_f64 v[114:115], v[66:67], v[78:79]
	v_add_f64 v[165:166], v[70:71], -v[94:95]
	s_mov_b32 s26, 0x6c9a05f6
	s_mov_b32 s27, 0xbfe9895b
	v_add_f64 v[135:136], v[68:69], v[92:93]
	s_mov_b32 s18, 0x6ed5f1bb
	s_mov_b32 s19, 0xbfe348c8
	v_add_f64 v[235:236], v[68:69], -v[92:93]
	v_add_f64 v[141:142], v[70:71], v[94:95]
	v_add_f64 v[149:150], v[74:75], -v[90:91]
	s_mov_b32 s38, 0x4363dd80
	s_mov_b32 s39, 0xbfe0d888
	v_add_f64 v[145:146], v[72:73], v[88:89]
	s_mov_b32 s22, 0x910ea3b9
	s_mov_b32 s23, 0xbfeb34fa
	;; [unrolled: 8-line block ×3, first 2 shown]
	v_add_f64 v[137:138], v[80:81], -v[84:85]
	v_add_f64 v[161:162], v[82:83], v[86:87]
	s_mov_b32 s51, 0x3fe0d888
	s_mov_b32 s50, s38
	;; [unrolled: 1-line block ×10, first 2 shown]
	v_mul_f64 v[205:206], v[167:168], s[34:35]
	v_mul_f64 v[211:212], v[195:196], s[34:35]
	s_mov_b32 s45, 0x3fe58eea
	s_mov_b32 s44, s30
	v_mul_f64 v[221:222], v[167:168], s[36:37]
	v_mul_f64 v[227:228], v[195:196], s[36:37]
	s_mov_b32 s55, 0x3fe9895b
	s_mov_b32 s54, s26
	;; [unrolled: 1-line block ×4, first 2 shown]
	v_mul_f64 v[249:250], v[167:168], s[20:21]
	v_mul_f64 v[98:99], v[195:196], s[20:21]
	;; [unrolled: 1-line block ×24, first 2 shown]
	v_fma_f64 v[20:21], v[112:113], s[22:23], -v[193:194]
	v_mul_f64 v[245:246], v[137:138], s[40:41]
	v_mul_f64 v[177:178], v[167:168], s[38:39]
	;; [unrolled: 1-line block ×7, first 2 shown]
	v_fma_f64 v[22:23], v[108:109], s[16:17], v[213:214]
	v_mul_f64 v[131:132], v[185:186], s[54:55]
	v_fma_f64 v[24:25], v[112:113], s[16:17], -v[219:220]
	v_mul_f64 v[143:144], v[209:210], s[28:29]
	v_mul_f64 v[153:154], v[235:236], s[48:49]
	;; [unrolled: 1-line block ×3, first 2 shown]
	v_fma_f64 v[26:27], v[108:109], s[10:11], v[247:248]
	v_fma_f64 v[106:107], v[112:113], s[10:11], -v[116:117]
	v_fma_f64 v[0:1], v[179:180], s[4:5], v[0:1]
	v_fma_f64 v[2:3], v[187:188], s[4:5], -v[2:3]
	;; [unrolled: 2-line block ×3, first 2 shown]
	v_fma_f64 v[8:9], v[118:119], s[10:11], v[8:9]
	v_add_f64 v[0:1], v[32:33], v[0:1]
	v_add_f64 v[2:3], v[34:35], v[2:3]
	;; [unrolled: 1-line block ×3, first 2 shown]
	v_fma_f64 v[4:5], v[124:125], s[10:11], -v[12:13]
	v_add_f64 v[2:3], v[6:7], v[2:3]
	v_fma_f64 v[6:7], v[96:97], s[8:9], v[10:11]
	v_add_f64 v[0:1], v[8:9], v[0:1]
	v_add_f64 v[2:3], v[4:5], v[2:3]
	v_mul_f64 v[4:5], v[185:186], s[36:37]
	buffer_store_dword v4, off, s[60:63], 0 offset:140 ; 4-byte Folded Spill
	buffer_store_dword v5, off, s[60:63], 0 offset:144 ; 4-byte Folded Spill
	v_add_f64 v[0:1], v[6:7], v[0:1]
	v_fma_f64 v[4:5], v[120:121], s[8:9], -v[4:5]
	v_add_f64 v[2:3], v[4:5], v[2:3]
	v_mul_f64 v[4:5], v[139:140], s[20:21]
	buffer_store_dword v4, off, s[60:63], 0 offset:116 ; 4-byte Folded Spill
	buffer_store_dword v5, off, s[60:63], 0 offset:120 ; 4-byte Folded Spill
	v_fma_f64 v[4:5], v[104:105], s[16:17], v[4:5]
	v_add_f64 v[0:1], v[4:5], v[0:1]
	v_mul_f64 v[4:5], v[209:210], s[20:21]
	buffer_store_dword v4, off, s[60:63], 0 offset:124 ; 4-byte Folded Spill
	buffer_store_dword v5, off, s[60:63], 0 offset:128 ; 4-byte Folded Spill
	v_fma_f64 v[4:5], v[114:115], s[16:17], -v[4:5]
	v_add_f64 v[2:3], v[4:5], v[2:3]
	v_mul_f64 v[4:5], v[165:166], s[26:27]
	buffer_store_dword v4, off, s[60:63], 0 offset:172 ; 4-byte Folded Spill
	buffer_store_dword v5, off, s[60:63], 0 offset:176 ; 4-byte Folded Spill
	v_fma_f64 v[4:5], v[135:136], s[18:19], v[4:5]
	v_add_f64 v[0:1], v[4:5], v[0:1]
	v_mul_f64 v[4:5], v[235:236], s[26:27]
	buffer_store_dword v4, off, s[60:63], 0 offset:180 ; 4-byte Folded Spill
	buffer_store_dword v5, off, s[60:63], 0 offset:184 ; 4-byte Folded Spill
	v_fma_f64 v[4:5], v[141:142], s[18:19], -v[4:5]
	v_add_f64 v[2:3], v[4:5], v[2:3]
	v_mul_f64 v[4:5], v[149:150], s[38:39]
	buffer_store_dword v4, off, s[60:63], 0 offset:188 ; 4-byte Folded Spill
	buffer_store_dword v5, off, s[60:63], 0 offset:192 ; 4-byte Folded Spill
	v_fma_f64 v[4:5], v[145:146], s[22:23], v[4:5]
	v_add_f64 v[0:1], v[4:5], v[0:1]
	v_mul_f64 v[4:5], v[253:254], s[38:39]
	buffer_store_dword v4, off, s[60:63], 0 offset:196 ; 4-byte Folded Spill
	buffer_store_dword v5, off, s[60:63], 0 offset:200 ; 4-byte Folded Spill
	v_fma_f64 v[4:5], v[151:152], s[22:23], -v[4:5]
	v_add_f64 v[2:3], v[4:5], v[2:3]
	v_mul_f64 v[4:5], v[159:160], s[48:49]
	buffer_store_dword v4, off, s[60:63], 0 offset:204 ; 4-byte Folded Spill
	buffer_store_dword v5, off, s[60:63], 0 offset:208 ; 4-byte Folded Spill
	v_fma_f64 v[4:5], v[155:156], s[24:25], v[4:5]
	v_add_f64 v[0:1], v[4:5], v[0:1]
	v_mul_f64 v[4:5], v[137:138], s[48:49]
	buffer_store_dword v4, off, s[60:63], 0 offset:212 ; 4-byte Folded Spill
	buffer_store_dword v5, off, s[60:63], 0 offset:216 ; 4-byte Folded Spill
	v_fma_f64 v[4:5], v[161:162], s[24:25], -v[4:5]
	v_add_f64 v[2:3], v[4:5], v[2:3]
	buffer_store_dword v0, off, s[60:63], 0 offset:4 ; 4-byte Folded Spill
	buffer_store_dword v1, off, s[60:63], 0 offset:8 ; 4-byte Folded Spill
	;; [unrolled: 1-line block ×4, first 2 shown]
	v_mul_f64 v[0:1], v[167:168], s[30:31]
	buffer_store_dword v0, off, s[60:63], 0 offset:580 ; 4-byte Folded Spill
	buffer_store_dword v1, off, s[60:63], 0 offset:584 ; 4-byte Folded Spill
	v_fma_f64 v[4:5], v[179:180], s[6:7], v[0:1]
	v_mul_f64 v[0:1], v[102:103], s[36:37]
	buffer_store_dword v0, off, s[60:63], 0 offset:388 ; 4-byte Folded Spill
	buffer_store_dword v1, off, s[60:63], 0 offset:392 ; 4-byte Folded Spill
	v_add_f64 v[4:5], v[32:33], v[4:5]
	v_fma_f64 v[6:7], v[108:109], s[8:9], v[0:1]
	v_mul_f64 v[0:1], v[195:196], s[30:31]
	buffer_store_dword v0, off, s[60:63], 0 offset:588 ; 4-byte Folded Spill
	buffer_store_dword v1, off, s[60:63], 0 offset:592 ; 4-byte Folded Spill
	v_add_f64 v[4:5], v[6:7], v[4:5]
	v_fma_f64 v[6:7], v[187:188], s[6:7], -v[0:1]
	v_mul_f64 v[0:1], v[169:170], s[36:37]
	buffer_store_dword v0, off, s[60:63], 0 offset:412 ; 4-byte Folded Spill
	buffer_store_dword v1, off, s[60:63], 0 offset:416 ; 4-byte Folded Spill
	v_add_f64 v[6:7], v[34:35], v[6:7]
	v_fma_f64 v[8:9], v[112:113], s[8:9], -v[0:1]
	v_mul_f64 v[0:1], v[110:111], s[26:27]
	buffer_store_dword v0, off, s[60:63], 0 offset:380 ; 4-byte Folded Spill
	buffer_store_dword v1, off, s[60:63], 0 offset:384 ; 4-byte Folded Spill
	v_add_f64 v[6:7], v[8:9], v[6:7]
	v_fma_f64 v[8:9], v[118:119], s[18:19], v[0:1]
	v_mul_f64 v[0:1], v[171:172], s[26:27]
	buffer_store_dword v0, off, s[60:63], 0 offset:396 ; 4-byte Folded Spill
	buffer_store_dword v1, off, s[60:63], 0 offset:400 ; 4-byte Folded Spill
	v_add_f64 v[4:5], v[8:9], v[4:5]
	v_fma_f64 v[8:9], v[124:125], s[18:19], -v[0:1]
	v_mul_f64 v[0:1], v[100:101], s[48:49]
	buffer_store_dword v0, off, s[60:63], 0 offset:356 ; 4-byte Folded Spill
	buffer_store_dword v1, off, s[60:63], 0 offset:360 ; 4-byte Folded Spill
	v_add_f64 v[6:7], v[8:9], v[6:7]
	v_fma_f64 v[8:9], v[96:97], s[24:25], v[0:1]
	;; [unrolled: 10-line block ×6, first 2 shown]
	v_add_f64 v[0:1], v[8:9], v[4:5]
	v_mul_f64 v[4:5], v[137:138], s[46:47]
	v_fma_f64 v[8:9], v[161:162], s[4:5], -v[4:5]
	v_add_f64 v[2:3], v[8:9], v[6:7]
	buffer_store_dword v0, off, s[60:63], 0 offset:20 ; 4-byte Folded Spill
	buffer_store_dword v1, off, s[60:63], 0 offset:24 ; 4-byte Folded Spill
	;; [unrolled: 1-line block ×4, first 2 shown]
	v_mul_f64 v[0:1], v[102:103], s[26:27]
	buffer_store_dword v0, off, s[60:63], 0 offset:452 ; 4-byte Folded Spill
	buffer_store_dword v1, off, s[60:63], 0 offset:456 ; 4-byte Folded Spill
	v_fma_f64 v[8:9], v[179:180], s[10:11], v[205:206]
	v_mul_f64 v[2:3], v[137:138], s[38:39]
	v_mul_f64 v[6:7], v[159:160], s[38:39]
	v_add_f64 v[8:9], v[32:33], v[8:9]
	v_fma_f64 v[10:11], v[108:109], s[18:19], v[0:1]
	v_mul_f64 v[0:1], v[169:170], s[26:27]
	buffer_store_dword v0, off, s[60:63], 0 offset:484 ; 4-byte Folded Spill
	buffer_store_dword v1, off, s[60:63], 0 offset:488 ; 4-byte Folded Spill
	v_add_f64 v[8:9], v[10:11], v[8:9]
	v_fma_f64 v[10:11], v[187:188], s[10:11], -v[211:212]
	v_add_f64 v[10:11], v[34:35], v[10:11]
	v_fma_f64 v[12:13], v[112:113], s[18:19], -v[0:1]
	v_mul_f64 v[0:1], v[110:111], s[56:57]
	buffer_store_dword v0, off, s[60:63], 0 offset:468 ; 4-byte Folded Spill
	buffer_store_dword v1, off, s[60:63], 0 offset:472 ; 4-byte Folded Spill
	v_add_f64 v[10:11], v[12:13], v[10:11]
	v_fma_f64 v[12:13], v[118:119], s[24:25], v[0:1]
	v_mul_f64 v[0:1], v[171:172], s[56:57]
	buffer_store_dword v0, off, s[60:63], 0 offset:492 ; 4-byte Folded Spill
	buffer_store_dword v1, off, s[60:63], 0 offset:496 ; 4-byte Folded Spill
	v_add_f64 v[8:9], v[12:13], v[8:9]
	v_fma_f64 v[12:13], v[124:125], s[24:25], -v[0:1]
	v_mul_f64 v[0:1], v[100:101], s[52:53]
	buffer_store_dword v0, off, s[60:63], 0 offset:444 ; 4-byte Folded Spill
	buffer_store_dword v1, off, s[60:63], 0 offset:448 ; 4-byte Folded Spill
	v_add_f64 v[10:11], v[12:13], v[10:11]
	v_fma_f64 v[12:13], v[96:97], s[16:17], v[0:1]
	v_mul_f64 v[0:1], v[185:186], s[52:53]
	buffer_store_dword v0, off, s[60:63], 0 offset:500 ; 4-byte Folded Spill
	buffer_store_dword v1, off, s[60:63], 0 offset:504 ; 4-byte Folded Spill
	;; [unrolled: 10-line block ×5, first 2 shown]
	buffer_store_dword v2, off, s[60:63], 0 offset:276 ; 4-byte Folded Spill
	buffer_store_dword v3, off, s[60:63], 0 offset:280 ; 4-byte Folded Spill
	v_add_f64 v[8:9], v[12:13], v[8:9]
	v_fma_f64 v[12:13], v[151:152], s[8:9], -v[0:1]
	v_add_f64 v[10:11], v[12:13], v[10:11]
	v_fma_f64 v[12:13], v[155:156], s[22:23], v[6:7]
	v_add_f64 v[0:1], v[12:13], v[8:9]
	v_fma_f64 v[12:13], v[161:162], s[22:23], -v[2:3]
	v_add_f64 v[2:3], v[12:13], v[10:11]
	buffer_store_dword v0, off, s[60:63], 0 offset:36 ; 4-byte Folded Spill
	buffer_store_dword v1, off, s[60:63], 0 offset:40 ; 4-byte Folded Spill
	;; [unrolled: 1-line block ×4, first 2 shown]
	v_mul_f64 v[0:1], v[102:103], s[48:49]
	buffer_store_dword v0, off, s[60:63], 0 offset:516 ; 4-byte Folded Spill
	buffer_store_dword v1, off, s[60:63], 0 offset:520 ; 4-byte Folded Spill
	v_fma_f64 v[12:13], v[179:180], s[8:9], v[221:222]
	v_add_f64 v[12:13], v[32:33], v[12:13]
	v_fma_f64 v[14:15], v[108:109], s[24:25], v[0:1]
	v_mul_f64 v[0:1], v[169:170], s[48:49]
	buffer_store_dword v0, off, s[60:63], 0 offset:532 ; 4-byte Folded Spill
	buffer_store_dword v1, off, s[60:63], 0 offset:536 ; 4-byte Folded Spill
	v_add_f64 v[12:13], v[14:15], v[12:13]
	v_fma_f64 v[14:15], v[187:188], s[8:9], -v[227:228]
	v_add_f64 v[14:15], v[34:35], v[14:15]
	v_fma_f64 v[16:17], v[112:113], s[24:25], -v[0:1]
	v_mul_f64 v[0:1], v[110:111], s[52:53]
	buffer_store_dword v0, off, s[60:63], 0 offset:524 ; 4-byte Folded Spill
	buffer_store_dword v1, off, s[60:63], 0 offset:528 ; 4-byte Folded Spill
	v_add_f64 v[14:15], v[16:17], v[14:15]
	v_fma_f64 v[16:17], v[118:119], s[16:17], v[0:1]
	v_mul_f64 v[0:1], v[171:172], s[52:53]
	buffer_store_dword v0, off, s[60:63], 0 offset:548 ; 4-byte Folded Spill
	buffer_store_dword v1, off, s[60:63], 0 offset:552 ; 4-byte Folded Spill
	v_add_f64 v[12:13], v[16:17], v[12:13]
	v_fma_f64 v[16:17], v[124:125], s[16:17], -v[0:1]
	v_mul_f64 v[0:1], v[100:101], s[46:47]
	buffer_store_dword v0, off, s[60:63], 0 offset:540 ; 4-byte Folded Spill
	buffer_store_dword v1, off, s[60:63], 0 offset:544 ; 4-byte Folded Spill
	v_add_f64 v[14:15], v[16:17], v[14:15]
	v_fma_f64 v[16:17], v[96:97], s[4:5], v[0:1]
	v_mul_f64 v[0:1], v[185:186], s[46:47]
	buffer_store_dword v0, off, s[60:63], 0 offset:564 ; 4-byte Folded Spill
	buffer_store_dword v1, off, s[60:63], 0 offset:568 ; 4-byte Folded Spill
	;; [unrolled: 10-line block ×5, first 2 shown]
	v_add_f64 v[12:13], v[16:17], v[12:13]
	v_fma_f64 v[16:17], v[151:152], s[18:19], -v[0:1]
	v_mul_f64 v[0:1], v[159:160], s[44:45]
	buffer_store_dword v0, off, s[60:63], 0 offset:324 ; 4-byte Folded Spill
	buffer_store_dword v1, off, s[60:63], 0 offset:328 ; 4-byte Folded Spill
	v_add_f64 v[14:15], v[16:17], v[14:15]
	v_fma_f64 v[16:17], v[155:156], s[6:7], v[0:1]
	v_add_f64 v[0:1], v[16:17], v[12:13]
	v_mul_f64 v[12:13], v[137:138], s[44:45]
	v_fma_f64 v[16:17], v[161:162], s[6:7], -v[12:13]
	v_add_f64 v[2:3], v[16:17], v[14:15]
	buffer_store_dword v0, off, s[60:63], 0 offset:52 ; 4-byte Folded Spill
	buffer_store_dword v1, off, s[60:63], 0 offset:56 ; 4-byte Folded Spill
	;; [unrolled: 1-line block ×4, first 2 shown]
	v_mul_f64 v[0:1], v[102:103], s[50:51]
	buffer_store_dword v0, off, s[60:63], 0 offset:596 ; 4-byte Folded Spill
	buffer_store_dword v1, off, s[60:63], 0 offset:600 ; 4-byte Folded Spill
	v_fma_f64 v[16:17], v[179:180], s[16:17], v[249:250]
	v_mul_f64 v[14:15], v[159:160], s[26:27]
	v_add_f64 v[16:17], v[32:33], v[16:17]
	v_fma_f64 v[18:19], v[108:109], s[22:23], v[0:1]
	v_mul_f64 v[0:1], v[165:166], s[42:43]
	buffer_store_dword v0, off, s[60:63], 0 offset:460 ; 4-byte Folded Spill
	buffer_store_dword v1, off, s[60:63], 0 offset:464 ; 4-byte Folded Spill
	v_add_f64 v[16:17], v[18:19], v[16:17]
	v_fma_f64 v[18:19], v[187:188], s[16:17], -v[98:99]
	v_add_f64 v[18:19], v[34:35], v[18:19]
	v_add_f64 v[18:19], v[20:21], v[18:19]
	v_fma_f64 v[20:21], v[118:119], s[6:7], v[191:192]
	v_add_f64 v[16:17], v[20:21], v[16:17]
	v_fma_f64 v[20:21], v[124:125], s[6:7], -v[199:200]
	v_add_f64 v[18:19], v[20:21], v[18:19]
	v_fma_f64 v[20:21], v[96:97], s[10:11], v[197:198]
	v_add_f64 v[16:17], v[20:21], v[16:17]
	v_fma_f64 v[20:21], v[120:121], s[10:11], -v[203:204]
	;; [unrolled: 4-line block ×3, first 2 shown]
	v_add_f64 v[18:19], v[20:21], v[18:19]
	v_fma_f64 v[20:21], v[135:136], s[8:9], v[0:1]
	v_mul_f64 v[0:1], v[235:236], s[42:43]
	buffer_store_dword v0, off, s[60:63], 0 offset:476 ; 4-byte Folded Spill
	buffer_store_dword v1, off, s[60:63], 0 offset:480 ; 4-byte Folded Spill
	v_add_f64 v[16:17], v[20:21], v[16:17]
	v_fma_f64 v[20:21], v[141:142], s[8:9], -v[0:1]
	v_mul_f64 v[0:1], v[149:150], s[28:29]
	buffer_store_dword v0, off, s[60:63], 0 offset:428 ; 4-byte Folded Spill
	buffer_store_dword v1, off, s[60:63], 0 offset:432 ; 4-byte Folded Spill
	v_add_f64 v[18:19], v[20:21], v[18:19]
	v_fma_f64 v[20:21], v[145:146], s[4:5], v[0:1]
	v_mul_f64 v[0:1], v[253:254], s[28:29]
	buffer_store_dword v0, off, s[60:63], 0 offset:436 ; 4-byte Folded Spill
	buffer_store_dword v1, off, s[60:63], 0 offset:440 ; 4-byte Folded Spill
	v_add_f64 v[16:17], v[20:21], v[16:17]
	v_fma_f64 v[20:21], v[151:152], s[4:5], -v[0:1]
	v_add_f64 v[18:19], v[20:21], v[18:19]
	v_fma_f64 v[20:21], v[155:156], s[18:19], v[14:15]
	v_add_f64 v[0:1], v[20:21], v[16:17]
	v_mul_f64 v[16:17], v[137:138], s[26:27]
	v_fma_f64 v[20:21], v[161:162], s[18:19], -v[16:17]
	v_add_f64 v[2:3], v[20:21], v[18:19]
	v_fma_f64 v[20:21], v[179:180], s[18:19], v[157:158]
	buffer_store_dword v0, off, s[60:63], 0 offset:68 ; 4-byte Folded Spill
	buffer_store_dword v1, off, s[60:63], 0 offset:72 ; 4-byte Folded Spill
	;; [unrolled: 1-line block ×4, first 2 shown]
	v_add_f64 v[20:21], v[32:33], v[20:21]
	v_add_f64 v[20:21], v[22:23], v[20:21]
	v_fma_f64 v[22:23], v[187:188], s[18:19], -v[173:174]
	v_add_f64 v[22:23], v[34:35], v[22:23]
	v_add_f64 v[22:23], v[24:25], v[22:23]
	v_fma_f64 v[24:25], v[118:119], s[4:5], v[215:216]
	v_add_f64 v[20:21], v[24:25], v[20:21]
	v_fma_f64 v[24:25], v[124:125], s[4:5], -v[225:226]
	v_add_f64 v[22:23], v[24:25], v[22:23]
	v_fma_f64 v[24:25], v[96:97], s[22:23], v[217:218]
	v_add_f64 v[20:21], v[24:25], v[20:21]
	v_fma_f64 v[24:25], v[120:121], s[22:23], -v[231:232]
	;; [unrolled: 4-line block ×6, first 2 shown]
	v_add_f64 v[2:3], v[24:25], v[22:23]
	v_fma_f64 v[24:25], v[179:180], s[22:23], v[177:178]
	buffer_store_dword v0, off, s[60:63], 0 offset:84 ; 4-byte Folded Spill
	buffer_store_dword v1, off, s[60:63], 0 offset:88 ; 4-byte Folded Spill
	;; [unrolled: 1-line block ×4, first 2 shown]
	v_add_f64 v[24:25], v[32:33], v[24:25]
	s_waitcnt_vscnt null, 0x0
	s_barrier
	buffer_gl0_inv
	v_add_f64 v[24:25], v[26:27], v[24:25]
	v_fma_f64 v[26:27], v[187:188], s[22:23], -v[181:182]
	v_add_f64 v[26:27], v[34:35], v[26:27]
	v_add_f64 v[26:27], v[106:107], v[26:27]
	v_fma_f64 v[106:107], v[118:119], s[8:9], v[251:252]
	v_add_f64 v[24:25], v[106:107], v[24:25]
	v_fma_f64 v[106:107], v[124:125], s[8:9], -v[126:127]
	v_add_f64 v[26:27], v[106:107], v[26:27]
	v_mul_f64 v[106:107], v[100:101], s[54:55]
	v_fma_f64 v[122:123], v[96:97], s[18:19], v[106:107]
	v_add_f64 v[24:25], v[122:123], v[24:25]
	v_fma_f64 v[122:123], v[120:121], s[18:19], -v[131:132]
	v_add_f64 v[26:27], v[122:123], v[26:27]
	v_mul_f64 v[122:123], v[139:140], s[28:29]
	;; [unrolled: 5-line block ×5, first 2 shown]
	v_fma_f64 v[175:176], v[155:156], s[16:17], v[147:148]
	v_add_f64 v[8:9], v[175:176], v[24:25]
	v_mul_f64 v[175:176], v[137:138], s[20:21]
	v_fma_f64 v[189:190], v[161:162], s[16:17], -v[175:176]
	v_add_f64 v[10:11], v[189:190], v[26:27]
	s_and_saveexec_b32 s33, vcc_lo
	s_cbranch_execz .LBB0_7
; %bb.6:
	s_clause 0x1
	buffer_load_dword v0, off, s[60:63], 0 offset:588
	buffer_load_dword v1, off, s[60:63], 0 offset:592
	v_add_f64 v[48:49], v[32:33], v[48:49]
	v_add_f64 v[50:51], v[34:35], v[50:51]
	v_mul_f64 v[102:103], v[102:103], s[46:47]
	v_mul_f64 v[110:111], v[110:111], s[38:39]
	v_mov_b32_e32 v19, v15
	v_mov_b32_e32 v18, v14
	;; [unrolled: 1-line block ×4, first 2 shown]
	v_add_f64 v[48:49], v[48:49], v[52:53]
	v_add_f64 v[50:51], v[50:51], v[54:55]
	v_mul_f64 v[54:55], v[179:180], s[18:19]
	v_mul_f64 v[52:53], v[187:188], s[18:19]
	v_fma_f64 v[2:3], v[118:119], s[22:23], -v[110:111]
	v_add_f64 v[48:49], v[48:49], v[56:57]
	v_add_f64 v[50:51], v[50:51], v[58:59]
	v_mul_f64 v[58:59], v[179:180], s[16:17]
	v_mul_f64 v[56:57], v[187:188], s[16:17]
	v_add_f64 v[54:55], v[54:55], -v[157:158]
	v_mul_f64 v[157:158], v[161:162], s[16:17]
	v_add_f64 v[52:53], v[173:174], v[52:53]
	v_mul_f64 v[173:174], v[151:152], s[24:25]
	v_add_f64 v[48:49], v[48:49], v[60:61]
	v_add_f64 v[50:51], v[50:51], v[62:63]
	v_mul_f64 v[62:63], v[179:180], s[8:9]
	v_mul_f64 v[60:61], v[187:188], s[8:9]
	v_add_f64 v[56:57], v[98:99], v[56:57]
	v_add_f64 v[157:158], v[175:176], v[157:158]
	v_mul_f64 v[175:176], v[141:142], s[6:7]
	v_add_f64 v[173:174], v[243:244], v[173:174]
	v_mul_f64 v[243:244], v[112:113], s[8:9]
	v_mul_f64 v[98:99], v[112:113], s[4:5]
	v_add_f64 v[58:59], v[58:59], -v[249:250]
	v_fma_f64 v[249:250], v[108:109], s[4:5], v[102:103]
	v_fma_f64 v[102:103], v[108:109], s[4:5], -v[102:103]
	v_add_f64 v[52:53], v[34:35], v[52:53]
	v_add_f64 v[54:55], v[32:33], v[54:55]
	;; [unrolled: 1-line block ×4, first 2 shown]
	v_mul_f64 v[64:65], v[187:188], s[10:11]
	v_add_f64 v[62:63], v[62:63], -v[221:222]
	v_mul_f64 v[221:222], v[124:125], s[16:17]
	v_mul_f64 v[66:67], v[179:180], s[10:11]
	v_add_f64 v[60:61], v[227:228], v[60:61]
	v_mul_f64 v[227:228], v[108:109], s[24:25]
	v_add_f64 v[175:176], v[241:242], v[175:176]
	;; [unrolled: 2-line block ×3, first 2 shown]
	v_add_f64 v[58:59], v[32:33], v[58:59]
	v_add_f64 v[48:49], v[48:49], v[68:69]
	v_mul_f64 v[68:69], v[187:188], s[6:7]
	v_add_f64 v[50:51], v[50:51], v[70:71]
	v_mul_f64 v[70:71], v[179:180], s[6:7]
	v_add_f64 v[64:65], v[211:212], v[64:65]
	v_mul_f64 v[211:212], v[118:119], s[4:5]
	v_add_f64 v[66:67], v[66:67], -v[205:206]
	v_mul_f64 v[205:206], v[104:105], s[8:9]
	v_add_f64 v[60:61], v[34:35], v[60:61]
	v_add_f64 v[62:63], v[32:33], v[62:63]
	;; [unrolled: 1-line block ×3, first 2 shown]
	v_mul_f64 v[72:73], v[187:188], s[4:5]
	v_add_f64 v[50:51], v[50:51], v[74:75]
	v_mul_f64 v[74:75], v[167:168], s[48:49]
	v_mul_f64 v[167:168], v[151:152], s[6:7]
	v_add_f64 v[211:212], v[211:212], -v[215:216]
	v_mul_f64 v[215:216], v[108:109], s[16:17]
	v_add_f64 v[205:206], v[205:206], -v[223:224]
	v_mul_f64 v[223:224], v[112:113], s[24:25]
	v_add_f64 v[64:65], v[34:35], v[64:65]
	v_add_f64 v[66:67], v[32:33], v[66:67]
	;; [unrolled: 1-line block ×3, first 2 shown]
	v_mul_f64 v[80:81], v[141:142], s[10:11]
	v_add_f64 v[50:51], v[50:51], v[82:83]
	v_add_f64 v[163:164], v[163:164], v[167:168]
	v_mul_f64 v[167:168], v[141:142], s[24:25]
	v_add_f64 v[213:214], v[215:216], -v[213:214]
	v_mul_f64 v[215:216], v[114:115], s[24:25]
	v_add_f64 v[48:49], v[48:49], v[84:85]
	v_mul_f64 v[84:85], v[114:115], s[18:19]
	v_add_f64 v[50:51], v[50:51], v[86:87]
	v_fma_f64 v[82:83], v[235:236], s[34:35], v[80:81]
	v_fma_f64 v[80:81], v[235:236], s[40:41], v[80:81]
	v_mul_f64 v[235:236], v[124:125], s[24:25]
	v_add_f64 v[153:154], v[153:154], v[167:168]
	v_add_f64 v[207:208], v[207:208], v[215:216]
	v_mul_f64 v[215:216], v[120:121], s[10:11]
	v_mul_f64 v[167:168], v[114:115], s[4:5]
	v_add_f64 v[54:55], v[213:214], v[54:55]
	v_add_f64 v[48:49], v[48:49], v[88:89]
	v_fma_f64 v[86:87], v[209:210], s[54:55], v[84:85]
	v_add_f64 v[50:51], v[50:51], v[90:91]
	v_fma_f64 v[84:85], v[209:210], s[26:27], v[84:85]
	v_mul_f64 v[209:210], v[96:97], s[22:23]
	v_mul_f64 v[88:89], v[120:121], s[6:7]
	v_add_f64 v[203:204], v[203:204], v[215:216]
	v_mul_f64 v[215:216], v[124:125], s[6:7]
	v_add_f64 v[143:144], v[143:144], v[167:168]
	;; [unrolled: 2-line block ×3, first 2 shown]
	v_add_f64 v[48:49], v[48:49], v[92:93]
	v_mul_f64 v[92:93], v[124:125], s[22:23]
	v_add_f64 v[50:51], v[50:51], v[94:95]
	v_add_f64 v[209:210], v[209:210], -v[217:218]
	v_mul_f64 v[217:218], v[114:115], s[10:11]
	v_fma_f64 v[90:91], v[185:186], s[30:31], v[88:89]
	v_fma_f64 v[88:89], v[185:186], s[44:45], v[88:89]
	v_mul_f64 v[184:185], v[112:113], s[16:17]
	v_add_f64 v[199:200], v[199:200], v[215:216]
	v_mul_f64 v[215:216], v[112:113], s[22:23]
	v_add_f64 v[131:132], v[131:132], v[167:168]
	;; [unrolled: 2-line block ×3, first 2 shown]
	v_fma_f64 v[76:77], v[179:180], s[24:25], v[74:75]
	v_add_f64 v[50:51], v[50:51], v[78:79]
	v_mul_f64 v[78:79], v[179:180], s[4:5]
	v_fma_f64 v[74:75], v[179:180], s[24:25], -v[74:75]
	v_fma_f64 v[94:95], v[171:172], s[50:51], v[92:93]
	v_fma_f64 v[92:93], v[171:172], s[38:39], v[92:93]
	v_mul_f64 v[171:172], v[161:162], s[10:11]
	v_add_f64 v[184:185], v[219:220], v[184:185]
	v_mul_f64 v[219:220], v[120:121], s[4:5]
	v_add_f64 v[193:194], v[193:194], v[215:216]
	;; [unrolled: 2-line block ×4, first 2 shown]
	v_add_f64 v[44:45], v[48:49], v[44:45]
	v_mul_f64 v[48:49], v[187:188], s[22:23]
	v_add_f64 v[46:47], v[50:51], v[46:47]
	v_mul_f64 v[50:51], v[179:180], s[22:23]
	v_mul_f64 v[179:180], v[120:121], s[22:23]
	v_add_f64 v[76:77], v[32:33], v[76:77]
	v_add_f64 v[74:75], v[32:33], v[74:75]
	;; [unrolled: 1-line block ×3, first 2 shown]
	v_mul_f64 v[245:246], v[108:109], s[8:9]
	v_add_f64 v[52:53], v[184:185], v[52:53]
	v_add_f64 v[56:57], v[193:194], v[56:57]
	v_add_f64 v[201:202], v[215:216], -v[201:202]
	v_mul_f64 v[215:216], v[96:97], s[10:11]
	v_add_f64 v[116:117], v[116:117], v[167:168]
	v_mul_f64 v[167:168], v[155:156], s[16:17]
	v_add_f64 v[54:55], v[205:206], v[54:55]
	v_add_f64 v[40:41], v[44:45], v[40:41]
	;; [unrolled: 1-line block ×3, first 2 shown]
	v_mul_f64 v[181:182], v[124:125], s[4:5]
	v_mul_f64 v[44:45], v[187:188], s[24:25]
	v_add_f64 v[42:43], v[46:47], v[42:43]
	v_add_f64 v[179:180], v[231:232], v[179:180]
	v_mul_f64 v[231:232], v[96:97], s[4:5]
	v_mul_f64 v[188:189], v[145:146], s[24:25]
	v_add_f64 v[50:51], v[50:51], -v[177:178]
	v_mul_f64 v[177:178], v[114:115], s[8:9]
	v_mul_f64 v[186:187], v[155:156], s[10:11]
	v_add_f64 v[74:75], v[102:103], v[74:75]
	v_add_f64 v[197:198], v[215:216], -v[197:198]
	v_mul_f64 v[215:216], v[118:119], s[6:7]
	v_add_f64 v[147:148], v[167:168], -v[147:148]
	v_mul_f64 v[167:168], v[145:146], s[6:7]
	v_add_f64 v[76:77], v[249:250], v[76:77]
	v_add_f64 v[56:57], v[199:200], v[56:57]
	;; [unrolled: 1-line block ×4, first 2 shown]
	v_mul_f64 v[225:226], v[104:105], s[10:11]
	v_fma_f64 v[46:47], v[195:196], s[56:57], v[44:45]
	v_fma_f64 v[44:45], v[195:196], s[48:49], v[44:45]
	v_mul_f64 v[195:196], v[135:136], s[6:7]
	v_add_f64 v[188:189], v[188:189], -v[233:234]
	v_mul_f64 v[233:234], v[112:113], s[18:19]
	v_add_f64 v[177:178], v[237:238], v[177:178]
	v_mul_f64 v[237:238], v[120:121], s[16:17]
	s_waitcnt vmcnt(0)
	v_add_f64 v[68:69], v[0:1], v[68:69]
	s_clause 0x1
	buffer_load_dword v0, off, s[60:63], 0 offset:580
	buffer_load_dword v1, off, s[60:63], 0 offset:584
	v_add_f64 v[190:191], v[215:216], -v[191:192]
	v_mul_f64 v[215:216], v[108:109], s[22:23]
	v_add_f64 v[186:187], v[186:187], -v[239:240]
	v_mul_f64 v[239:240], v[114:115], s[6:7]
	v_mul_f64 v[112:113], v[112:113], s[6:7]
	v_add_f64 v[26:27], v[42:43], v[38:39]
	v_add_f64 v[42:43], v[40:41], v[36:37]
	v_mul_f64 v[36:37], v[161:162], s[8:9]
	v_add_f64 v[133:134], v[167:168], -v[133:134]
	v_mul_f64 v[167:168], v[135:136], s[24:25]
	v_add_f64 v[50:51], v[32:33], v[50:51]
	v_add_f64 v[2:3], v[2:3], v[74:75]
	v_mul_f64 v[74:75], v[100:101], s[44:45]
	v_add_f64 v[46:47], v[34:35], v[46:47]
	v_add_f64 v[44:45], v[34:35], v[44:45]
	v_add_f64 v[195:196], v[195:196], -v[229:230]
	v_mul_f64 v[229:230], v[118:119], s[16:17]
	v_add_f64 v[56:57], v[203:204], v[56:57]
	v_mul_f64 v[100:101], v[145:146], s[22:23]
	v_add_f64 v[48:49], v[116:117], v[48:49]
	v_add_f64 v[68:69], v[34:35], v[68:69]
	;; [unrolled: 1-line block ×3, first 2 shown]
	v_fma_f64 v[40:41], v[137:138], s[36:37], v[36:37]
	v_fma_f64 v[20:21], v[137:138], s[42:43], v[36:37]
	;; [unrolled: 1-line block ×4, first 2 shown]
	v_mul_f64 v[169:170], v[108:109], s[10:11]
	v_mul_f64 v[108:109], v[108:109], s[6:7]
	v_add_f64 v[129:130], v[167:168], -v[129:130]
	v_mul_f64 v[167:168], v[104:105], s[4:5]
	v_mov_b32_e32 v39, v11
	v_mov_b32_e32 v38, v10
	;; [unrolled: 1-line block ×6, first 2 shown]
	v_add_f64 v[56:57], v[207:208], v[56:57]
	v_add_f64 v[48:49], v[126:127], v[48:49]
	v_add_f64 v[52:53], v[179:180], v[52:53]
	v_add_f64 v[54:55], v[195:196], v[54:55]
	v_add_f64 v[6:7], v[137:138], v[46:47]
	v_mul_f64 v[46:47], v[96:97], s[24:25]
	v_add_f64 v[169:170], v[169:170], -v[247:248]
	v_mul_f64 v[247:248], v[118:119], s[24:25]
	v_add_f64 v[44:45], v[98:99], v[44:45]
	v_add_f64 v[122:123], v[167:168], -v[122:123]
	v_mul_f64 v[167:168], v[96:97], s[18:19]
	v_add_f64 v[48:49], v[131:132], v[48:49]
	v_add_f64 v[52:53], v[177:178], v[52:53]
	;; [unrolled: 1-line block ×3, first 2 shown]
	v_mul_f64 v[94:95], v[120:121], s[8:9]
	v_add_f64 v[50:51], v[169:170], v[50:51]
	v_add_f64 v[44:45], v[92:93], v[44:45]
	v_mul_f64 v[92:93], v[141:142], s[18:19]
	v_add_f64 v[106:107], v[167:168], -v[106:107]
	v_mul_f64 v[167:168], v[118:119], s[8:9]
	v_add_f64 v[48:49], v[143:144], v[48:49]
	v_add_f64 v[52:53], v[175:176], v[52:53]
	;; [unrolled: 1-line block ×3, first 2 shown]
	v_mul_f64 v[90:91], v[141:142], s[16:17]
	v_add_f64 v[44:45], v[88:89], v[44:45]
	v_mul_f64 v[88:89], v[135:136], s[4:5]
	v_add_f64 v[167:168], v[167:168], -v[251:252]
	v_mul_f64 v[251:252], v[124:125], s[18:19]
	v_mul_f64 v[124:125], v[124:125], s[10:11]
	v_add_f64 v[48:49], v[153:154], v[48:49]
	v_add_f64 v[52:53], v[173:174], v[52:53]
	;; [unrolled: 1-line block ×3, first 2 shown]
	v_mul_f64 v[86:87], v[141:142], s[4:5]
	v_add_f64 v[44:45], v[84:85], v[44:45]
	v_mul_f64 v[84:85], v[135:136], s[22:23]
	v_add_f64 v[50:51], v[167:168], v[50:51]
	v_add_f64 v[48:49], v[163:164], v[48:49]
	v_add_f64 v[6:7], v[82:83], v[6:7]
	v_mul_f64 v[82:83], v[141:142], s[22:23]
	v_add_f64 v[44:45], v[80:81], v[44:45]
	v_add_f64 v[50:51], v[106:107], v[50:51]
	;; [unrolled: 1-line block ×4, first 2 shown]
	s_waitcnt vmcnt(0)
	v_add_f64 v[70:71], v[70:71], -v[0:1]
	s_clause 0x1
	buffer_load_dword v0, off, s[60:63], 0 offset:252
	buffer_load_dword v1, off, s[60:63], 0 offset:256
	v_add_f64 v[70:71], v[32:33], v[70:71]
	s_waitcnt vmcnt(0)
	v_add_f64 v[72:73], v[0:1], v[72:73]
	s_clause 0x1
	buffer_load_dword v0, off, s[60:63], 0 offset:236
	buffer_load_dword v1, off, s[60:63], 0 offset:240
	v_add_f64 v[34:35], v[34:35], v[72:73]
	v_mul_f64 v[72:73], v[151:152], s[16:17]
	s_waitcnt vmcnt(0)
	v_add_f64 v[78:79], v[78:79], -v[0:1]
	s_clause 0x1
	buffer_load_dword v0, off, s[60:63], 0 offset:596
	buffer_load_dword v1, off, s[60:63], 0 offset:600
	v_add_f64 v[32:33], v[32:33], v[78:79]
	v_fma_f64 v[78:79], v[253:254], s[52:53], v[72:73]
	v_fma_f64 v[72:73], v[253:254], s[20:21], v[72:73]
	v_mul_f64 v[253:254], v[118:119], s[18:19]
	v_add_f64 v[6:7], v[78:79], v[6:7]
	v_add_f64 v[44:45], v[72:73], v[44:45]
	v_mul_f64 v[72:73], v[96:97], s[8:9]
	s_waitcnt vmcnt(0)
	v_add_f64 v[215:216], v[215:216], -v[0:1]
	s_clause 0x1
	buffer_load_dword v0, off, s[60:63], 0 offset:572
	buffer_load_dword v1, off, s[60:63], 0 offset:576
	v_add_f64 v[58:59], v[215:216], v[58:59]
	v_add_f64 v[58:59], v[190:191], v[58:59]
	;; [unrolled: 1-line block ×4, first 2 shown]
	s_waitcnt vmcnt(0)
	v_add_f64 v[217:218], v[0:1], v[217:218]
	s_clause 0x1
	buffer_load_dword v0, off, s[60:63], 0 offset:564
	buffer_load_dword v1, off, s[60:63], 0 offset:568
	s_waitcnt vmcnt(0)
	v_add_f64 v[219:220], v[0:1], v[219:220]
	s_clause 0x1
	buffer_load_dword v0, off, s[60:63], 0 offset:548
	buffer_load_dword v1, off, s[60:63], 0 offset:552
	;; [unrolled: 5-line block ×4, first 2 shown]
	v_add_f64 v[60:61], v[223:224], v[60:61]
	v_add_f64 v[60:61], v[221:222], v[60:61]
	;; [unrolled: 1-line block ×4, first 2 shown]
	s_waitcnt vmcnt(0)
	v_add_f64 v[225:226], v[225:226], -v[0:1]
	s_clause 0x1
	buffer_load_dword v0, off, s[60:63], 0 offset:516
	buffer_load_dword v1, off, s[60:63], 0 offset:520
	s_waitcnt vmcnt(0)
	v_add_f64 v[227:228], v[227:228], -v[0:1]
	s_clause 0x1
	buffer_load_dword v0, off, s[60:63], 0 offset:524
	buffer_load_dword v1, off, s[60:63], 0 offset:528
	v_add_f64 v[62:63], v[227:228], v[62:63]
	s_waitcnt vmcnt(0)
	v_add_f64 v[229:230], v[229:230], -v[0:1]
	s_clause 0x1
	buffer_load_dword v0, off, s[60:63], 0 offset:540
	buffer_load_dword v1, off, s[60:63], 0 offset:544
	v_add_f64 v[62:63], v[229:230], v[62:63]
	;; [unrolled: 6-line block ×3, first 2 shown]
	v_add_f64 v[62:63], v[225:226], v[62:63]
	s_waitcnt vmcnt(0)
	v_add_f64 v[233:234], v[0:1], v[233:234]
	s_clause 0x1
	buffer_load_dword v0, off, s[60:63], 0 offset:492
	buffer_load_dword v1, off, s[60:63], 0 offset:496
	v_add_f64 v[64:65], v[233:234], v[64:65]
	s_waitcnt vmcnt(0)
	v_add_f64 v[235:236], v[0:1], v[235:236]
	s_clause 0x1
	buffer_load_dword v0, off, s[60:63], 0 offset:500
	buffer_load_dword v1, off, s[60:63], 0 offset:504
	;; [unrolled: 6-line block ×4, first 2 shown]
	v_add_f64 v[64:65], v[239:240], v[64:65]
	s_waitcnt vmcnt(0)
	v_add_f64 v[241:242], v[241:242], -v[0:1]
	s_clause 0x1
	buffer_load_dword v0, off, s[60:63], 0 offset:412
	buffer_load_dword v1, off, s[60:63], 0 offset:416
	v_add_f64 v[66:67], v[241:242], v[66:67]
	s_waitcnt vmcnt(0)
	v_add_f64 v[243:244], v[0:1], v[243:244]
	s_clause 0x1
	buffer_load_dword v0, off, s[60:63], 0 offset:388
	buffer_load_dword v1, off, s[60:63], 0 offset:392
	v_add_f64 v[68:69], v[243:244], v[68:69]
	s_waitcnt vmcnt(0)
	v_add_f64 v[245:246], v[245:246], -v[0:1]
	s_clause 0x1
	buffer_load_dword v0, off, s[60:63], 0 offset:156
	buffer_load_dword v1, off, s[60:63], 0 offset:160
	v_add_f64 v[70:71], v[245:246], v[70:71]
	s_waitcnt vmcnt(0)
	v_add_f64 v[112:113], v[0:1], v[112:113]
	s_clause 0x1
	buffer_load_dword v0, off, s[60:63], 0 offset:468
	buffer_load_dword v1, off, s[60:63], 0 offset:472
	v_add_f64 v[34:35], v[112:113], v[34:35]
	s_waitcnt vmcnt(0)
	v_add_f64 v[247:248], v[247:248], -v[0:1]
	s_clause 0x1
	buffer_load_dword v0, off, s[60:63], 0 offset:132
	buffer_load_dword v1, off, s[60:63], 0 offset:136
	v_add_f64 v[66:67], v[247:248], v[66:67]
	s_waitcnt vmcnt(0)
	v_add_f64 v[108:109], v[108:109], -v[0:1]
	s_clause 0x1
	buffer_load_dword v0, off, s[60:63], 0 offset:396
	buffer_load_dword v1, off, s[60:63], 0 offset:400
	v_add_f64 v[32:33], v[108:109], v[32:33]
	s_waitcnt vmcnt(0)
	v_add_f64 v[251:252], v[0:1], v[251:252]
	s_clause 0x1
	buffer_load_dword v0, off, s[60:63], 0 offset:380
	buffer_load_dword v1, off, s[60:63], 0 offset:384
	v_add_f64 v[68:69], v[251:252], v[68:69]
	s_waitcnt vmcnt(0)
	v_add_f64 v[253:254], v[253:254], -v[0:1]
	s_clause 0x3
	buffer_load_dword v0, off, s[60:63], 0 offset:164
	buffer_load_dword v1, off, s[60:63], 0 offset:168
	;; [unrolled: 1-line block ×4, first 2 shown]
	v_add_f64 v[70:71], v[253:254], v[70:71]
	s_waitcnt vmcnt(2)
	v_add_f64 v[124:125], v[0:1], v[124:125]
	v_fma_f64 v[0:1], v[118:119], s[22:23], v[110:111]
	v_mul_f64 v[110:111], v[118:119], s[10:11]
	v_mul_f64 v[118:119], v[96:97], s[16:17]
	v_add_f64 v[34:35], v[124:125], v[34:35]
	v_add_f64 v[0:1], v[0:1], v[76:77]
	s_waitcnt vmcnt(0)
	v_add_f64 v[110:111], v[110:111], -v[4:5]
	s_clause 0x3
	buffer_load_dword v4, off, s[60:63], 0 offset:444
	buffer_load_dword v5, off, s[60:63], 0 offset:448
	;; [unrolled: 1-line block ×4, first 2 shown]
	v_fma_f64 v[76:77], v[96:97], s[6:7], v[74:75]
	v_fma_f64 v[74:75], v[96:97], s[6:7], -v[74:75]
	v_mul_f64 v[96:97], v[151:152], s[22:23]
	v_add_f64 v[32:33], v[110:111], v[32:33]
	v_add_f64 v[0:1], v[76:77], v[0:1]
	;; [unrolled: 1-line block ×3, first 2 shown]
	v_mul_f64 v[74:75], v[139:140], s[26:27]
	v_fma_f64 v[76:77], v[104:105], s[18:19], v[74:75]
	v_fma_f64 v[74:75], v[104:105], s[18:19], -v[74:75]
	v_add_f64 v[0:1], v[76:77], v[0:1]
	v_add_f64 v[2:3], v[74:75], v[2:3]
	v_mul_f64 v[74:75], v[165:166], s[40:41]
	v_fma_f64 v[76:77], v[135:136], s[10:11], v[74:75]
	v_fma_f64 v[74:75], v[135:136], s[10:11], -v[74:75]
	v_add_f64 v[0:1], v[76:77], v[0:1]
	v_add_f64 v[2:3], v[74:75], v[2:3]
	v_mul_f64 v[76:77], v[114:115], s[22:23]
	s_waitcnt vmcnt(2)
	v_add_f64 v[118:119], v[118:119], -v[4:5]
	v_mul_f64 v[4:5], v[120:121], s[24:25]
	v_add_f64 v[66:67], v[118:119], v[66:67]
	s_waitcnt vmcnt(0)
	v_add_f64 v[4:5], v[10:11], v[4:5]
	s_clause 0x5
	buffer_load_dword v10, off, s[60:63], 0 offset:356
	buffer_load_dword v11, off, s[60:63], 0 offset:360
	;; [unrolled: 1-line block ×6, first 2 shown]
	v_add_f64 v[4:5], v[4:5], v[68:69]
	v_mul_f64 v[68:69], v[104:105], s[22:23]
	s_waitcnt vmcnt(4)
	v_add_f64 v[46:47], v[46:47], -v[10:11]
	s_clause 0x1
	buffer_load_dword v10, off, s[60:63], 0 offset:340
	buffer_load_dword v11, off, s[60:63], 0 offset:344
	s_waitcnt vmcnt(2)
	v_add_f64 v[72:73], v[72:73], -v[74:75]
	v_mul_f64 v[74:75], v[104:105], s[6:7]
	v_add_f64 v[94:95], v[98:99], v[94:95]
	v_add_f64 v[46:47], v[46:47], v[70:71]
	v_mul_f64 v[70:71], v[114:115], s[16:17]
	v_add_f64 v[32:33], v[72:73], v[32:33]
	v_mul_f64 v[72:73], v[141:142], s[8:9]
	v_add_f64 v[34:35], v[94:95], v[34:35]
	s_waitcnt vmcnt(0)
	v_add_f64 v[74:75], v[74:75], -v[10:11]
	s_clause 0x1
	buffer_load_dword v10, off, s[60:63], 0 offset:292
	buffer_load_dword v11, off, s[60:63], 0 offset:296
	v_add_f64 v[66:67], v[74:75], v[66:67]
	v_mul_f64 v[74:75], v[151:152], s[18:19]
	s_waitcnt vmcnt(0)
	v_add_f64 v[76:77], v[10:11], v[76:77]
	s_clause 0x5
	buffer_load_dword v10, off, s[60:63], 0 offset:284
	buffer_load_dword v11, off, s[60:63], 0 offset:288
	;; [unrolled: 1-line block ×6, first 2 shown]
	v_add_f64 v[4:5], v[76:77], v[4:5]
	v_mul_f64 v[76:77], v[135:136], s[16:17]
	s_waitcnt vmcnt(4)
	v_add_f64 v[68:69], v[68:69], -v[10:11]
	s_clause 0x1
	buffer_load_dword v10, off, s[60:63], 0 offset:476
	buffer_load_dword v11, off, s[60:63], 0 offset:480
	s_waitcnt vmcnt(4)
	v_add_f64 v[70:71], v[78:79], v[70:71]
	v_mul_f64 v[78:79], v[104:105], s[16:17]
	v_mul_f64 v[104:105], v[155:156], s[24:25]
	v_add_f64 v[46:47], v[68:69], v[46:47]
	v_mul_f64 v[68:69], v[151:152], s[4:5]
	v_add_f64 v[34:35], v[70:71], v[34:35]
	s_waitcnt vmcnt(2)
	v_add_f64 v[78:79], v[78:79], -v[80:81]
	v_mul_f64 v[80:81], v[135:136], s[8:9]
	v_mul_f64 v[70:71], v[135:136], s[18:19]
	v_add_f64 v[32:33], v[78:79], v[32:33]
	v_mul_f64 v[78:79], v[145:146], s[18:19]
	s_waitcnt vmcnt(0)
	v_add_f64 v[72:73], v[10:11], v[72:73]
	s_clause 0x1
	buffer_load_dword v10, off, s[60:63], 0 offset:460
	buffer_load_dword v11, off, s[60:63], 0 offset:464
	v_add_f64 v[56:57], v[72:73], v[56:57]
	v_mul_f64 v[72:73], v[145:146], s[4:5]
	s_waitcnt vmcnt(0)
	v_add_f64 v[80:81], v[80:81], -v[10:11]
	s_clause 0x1
	buffer_load_dword v10, off, s[60:63], 0 offset:420
	buffer_load_dword v11, off, s[60:63], 0 offset:424
	v_add_f64 v[58:59], v[80:81], v[58:59]
	v_mul_f64 v[80:81], v[161:162], s[22:23]
	s_waitcnt vmcnt(0)
	v_add_f64 v[82:83], v[10:11], v[82:83]
	s_clause 0x1
	buffer_load_dword v10, off, s[60:63], 0 offset:404
	buffer_load_dword v11, off, s[60:63], 0 offset:408
	v_add_f64 v[60:61], v[82:83], v[60:61]
	v_mul_f64 v[82:83], v[151:152], s[8:9]
	s_waitcnt vmcnt(0)
	v_add_f64 v[84:85], v[84:85], -v[10:11]
	s_clause 0x1
	buffer_load_dword v10, off, s[60:63], 0 offset:332
	buffer_load_dword v11, off, s[60:63], 0 offset:336
	v_add_f64 v[62:63], v[84:85], v[62:63]
	v_mul_f64 v[84:85], v[161:162], s[4:5]
	v_add_f64 v[84:85], v[8:9], v[84:85]
	s_waitcnt vmcnt(0)
	v_add_f64 v[86:87], v[10:11], v[86:87]
	s_clause 0x1
	buffer_load_dword v10, off, s[60:63], 0 offset:316
	buffer_load_dword v11, off, s[60:63], 0 offset:320
	v_add_f64 v[64:65], v[86:87], v[64:65]
	v_mul_f64 v[86:87], v[145:146], s[8:9]
	s_waitcnt vmcnt(0)
	v_add_f64 v[88:89], v[88:89], -v[10:11]
	s_clause 0x1
	buffer_load_dword v10, off, s[60:63], 0 offset:268
	buffer_load_dword v11, off, s[60:63], 0 offset:272
	v_add_f64 v[66:67], v[88:89], v[66:67]
	v_mul_f64 v[88:89], v[155:156], s[4:5]
	s_waitcnt vmcnt(0)
	v_add_f64 v[90:91], v[10:11], v[90:91]
	s_clause 0x3
	buffer_load_dword v10, off, s[60:63], 0 offset:260
	buffer_load_dword v11, off, s[60:63], 0 offset:264
	;; [unrolled: 1-line block ×4, first 2 shown]
	v_add_f64 v[4:5], v[90:91], v[4:5]
	v_mul_f64 v[90:91], v[145:146], s[10:11]
	s_waitcnt vmcnt(2)
	v_add_f64 v[76:77], v[76:77], -v[10:11]
	s_waitcnt vmcnt(0)
	v_add_f64 v[92:93], v[94:95], v[92:93]
	s_clause 0x3
	buffer_load_dword v94, off, s[60:63], 0 offset:172
	buffer_load_dword v95, off, s[60:63], 0 offset:176
	;; [unrolled: 1-line block ×4, first 2 shown]
	v_add_f64 v[46:47], v[76:77], v[46:47]
	v_add_f64 v[34:35], v[92:93], v[34:35]
	v_mul_f64 v[92:93], v[149:150], s[20:21]
	s_waitcnt vmcnt(2)
	v_add_f64 v[70:71], v[70:71], -v[94:95]
	s_waitcnt vmcnt(0)
	v_add_f64 v[68:69], v[10:11], v[68:69]
	s_clause 0x1
	buffer_load_dword v10, off, s[60:63], 0 offset:428
	buffer_load_dword v11, off, s[60:63], 0 offset:432
	v_mul_f64 v[94:95], v[151:152], s[10:11]
	v_add_f64 v[32:33], v[70:71], v[32:33]
	v_add_f64 v[56:57], v[68:69], v[56:57]
	v_mul_f64 v[68:69], v[155:156], s[18:19]
	v_mul_f64 v[70:71], v[161:162], s[18:19]
	v_add_f64 v[76:77], v[68:69], -v[18:19]
	v_mul_f64 v[68:69], v[161:162], s[6:7]
	v_add_f64 v[70:71], v[16:17], v[70:71]
	v_add_f64 v[68:69], v[12:13], v[68:69]
	s_waitcnt vmcnt(0)
	v_add_f64 v[72:73], v[72:73], -v[10:11]
	s_clause 0x1
	buffer_load_dword v10, off, s[60:63], 0 offset:364
	buffer_load_dword v11, off, s[60:63], 0 offset:368
	v_add_f64 v[72:73], v[72:73], v[58:59]
	s_waitcnt vmcnt(0)
	v_add_f64 v[74:75], v[10:11], v[74:75]
	s_clause 0x1
	buffer_load_dword v10, off, s[60:63], 0 offset:348
	buffer_load_dword v11, off, s[60:63], 0 offset:352
	v_add_f64 v[60:61], v[74:75], v[60:61]
	v_mul_f64 v[74:75], v[155:156], s[6:7]
	s_waitcnt vmcnt(0)
	v_add_f64 v[78:79], v[78:79], -v[10:11]
	s_clause 0x1
	buffer_load_dword v10, off, s[60:63], 0 offset:308
	buffer_load_dword v11, off, s[60:63], 0 offset:312
	v_add_f64 v[78:79], v[78:79], v[62:63]
	s_waitcnt vmcnt(0)
	v_add_f64 v[82:83], v[10:11], v[82:83]
	s_clause 0x1
	buffer_load_dword v10, off, s[60:63], 0 offset:300
	buffer_load_dword v11, off, s[60:63], 0 offset:304
	v_add_f64 v[64:65], v[82:83], v[64:65]
	v_mul_f64 v[82:83], v[155:156], s[22:23]
	v_add_f64 v[82:83], v[82:83], -v[14:15]
	s_waitcnt vmcnt(0)
	v_add_f64 v[86:87], v[86:87], -v[10:11]
	s_clause 0x1
	buffer_load_dword v10, off, s[60:63], 0 offset:244
	buffer_load_dword v11, off, s[60:63], 0 offset:248
	v_add_f64 v[86:87], v[86:87], v[66:67]
	v_add_f64 v[66:67], v[42:43], v[28:29]
	s_waitcnt vmcnt(0)
	v_add_f64 v[94:95], v[10:11], v[94:95]
	s_clause 0x5
	buffer_load_dword v10, off, s[60:63], 0 offset:228
	buffer_load_dword v11, off, s[60:63], 0 offset:232
	;; [unrolled: 1-line block ×6, first 2 shown]
	v_add_f64 v[4:5], v[94:95], v[4:5]
	s_waitcnt vmcnt(4)
	v_add_f64 v[90:91], v[90:91], -v[10:11]
	s_clause 0x1
	buffer_load_dword v10, off, s[60:63], 0 offset:324
	buffer_load_dword v11, off, s[60:63], 0 offset:328
	s_waitcnt vmcnt(2)
	v_add_f64 v[100:101], v[100:101], -v[102:103]
	v_add_f64 v[96:97], v[98:99], v[96:97]
	v_fma_f64 v[98:99], v[145:146], s[16:17], v[92:93]
	v_fma_f64 v[92:93], v[145:146], s[16:17], -v[92:93]
	v_add_f64 v[46:47], v[90:91], v[46:47]
	v_add_f64 v[90:91], v[188:189], v[54:55]
	;; [unrolled: 1-line block ×4, first 2 shown]
	v_mul_f64 v[96:97], v[159:160], s[42:43]
	v_add_f64 v[0:1], v[98:99], v[0:1]
	v_add_f64 v[2:3], v[92:93], v[2:3]
	;; [unrolled: 1-line block ×7, first 2 shown]
	s_waitcnt vmcnt(0)
	v_add_f64 v[74:75], v[74:75], -v[10:11]
	s_clause 0x17
	buffer_load_dword v10, off, s[60:63], 0 offset:276
	buffer_load_dword v11, off, s[60:63], 0 offset:280
	;; [unrolled: 1-line block ×24, first 2 shown]
	s_waitcnt vmcnt(22)
	v_add_f64 v[80:81], v[10:11], v[80:81]
	v_mov_b32_e32 v8, v36
	s_waitcnt vmcnt(4)
	v_add_f64 v[88:89], v[88:89], -v[94:95]
	v_mul_f64 v[94:95], v[161:162], s[24:25]
	s_waitcnt vmcnt(0)
	v_add_f64 v[104:105], v[104:105], -v[106:107]
	v_add_f64 v[106:107], v[133:134], v[50:51]
	v_mov_b32_e32 v9, v37
	v_mov_b32_e32 v10, v38
	;; [unrolled: 1-line block ×3, first 2 shown]
	v_add_f64 v[36:37], v[20:21], v[44:45]
	v_add_f64 v[44:45], v[171:172], v[52:53]
	;; [unrolled: 1-line block ×9, first 2 shown]
	v_fma_f64 v[102:103], v[155:156], s[8:9], v[96:97]
	v_fma_f64 v[96:97], v[155:156], s[8:9], -v[96:97]
	v_add_f64 v[62:63], v[104:105], v[100:101]
	v_add_f64 v[46:47], v[76:77], v[72:73]
	;; [unrolled: 1-line block ×5, first 2 shown]
	v_mul_lo_u16 v0, v255, 17
	v_add_f64 v[34:35], v[96:97], v[2:3]
	v_and_b32_e32 v0, 0xffff, v0
	v_add_lshl_u32 v0, v183, v0, 4
	ds_write_b128 v0, v[66:69]
	ds_write_b128 v0, v[62:65] offset:16
	ds_write_b128 v0, v[58:61] offset:32
	ds_write_b128 v0, v[54:57] offset:48
	ds_write_b128 v0, v[50:53] offset:64
	ds_write_b128 v0, v[46:49] offset:80
	ds_write_b128 v0, v[42:45] offset:96
	ds_write_b128 v0, v[38:41] offset:112
	ds_write_b128 v0, v[34:37] offset:128
	ds_write_b128 v0, v[30:33] offset:144
	ds_write_b128 v0, v[8:11] offset:160
	ds_write_b128 v0, v[16:19] offset:176
	ds_write_b128 v0, v[12:15] offset:192
	ds_write_b128 v0, v[112:115] offset:208
	ds_write_b128 v0, v[108:111] offset:224
	s_clause 0x3
	buffer_load_dword v1, off, s[60:63], 0 offset:20
	buffer_load_dword v2, off, s[60:63], 0 offset:24
	;; [unrolled: 1-line block ×4, first 2 shown]
	s_waitcnt vmcnt(0)
	ds_write_b128 v0, v[1:4] offset:240
	s_clause 0x3
	buffer_load_dword v1, off, s[60:63], 0 offset:4
	buffer_load_dword v2, off, s[60:63], 0 offset:8
	;; [unrolled: 1-line block ×4, first 2 shown]
	s_waitcnt vmcnt(0)
	ds_write_b128 v0, v[1:4] offset:256
.LBB0_7:
	s_or_b32 exec_lo, exec_lo, s33
	v_add_nc_u16 v3, v255, 34
	v_add_nc_u16 v4, v255, 0x44
	;; [unrolled: 1-line block ×4, first 2 shown]
	s_load_dwordx4 s[4:7], s[0:1], 0x0
	v_and_b32_e32 v0, 0xff, v3
	v_and_b32_e32 v5, 0xff, v4
	v_add_co_u32 v2, s0, 0xffffffef, v255
	v_and_b32_e32 v28, 0xff, v6
	v_mul_lo_u16 v0, 0xf1, v0
	v_mul_lo_u16 v5, 0xf1, v5
	v_add_co_ci_u32_e64 v1, null, 0, -1, s0
	v_cmp_gt_u16_e64 s0, 17, v255
	v_and_b32_e32 v29, 0xff, v7
	v_lshrrev_b16 v102, 12, v0
	v_lshrrev_b16 v103, 12, v5
	v_mul_lo_u16 v5, 0xf1, v28
	v_cndmask_b32_e64 v1, v1, 0, s0
	v_cndmask_b32_e64 v0, v2, v255, s0
	v_mul_lo_u16 v28, 0xf1, v29
	v_mul_lo_u16 v29, v102, 17
	;; [unrolled: 1-line block ×3, first 2 shown]
	v_lshrrev_b16 v104, 12, v5
	v_lshlrev_b64 v[1:2], 4, v[0:1]
	v_lshrrev_b16 v105, 12, v28
	v_sub_nc_u16 v106, v3, v29
	v_mov_b32_e32 v3, 4
	v_sub_nc_u16 v107, v4, v30
	v_mul_lo_u16 v4, v104, 17
	v_mul_lo_u16 v5, v105, 17
	v_add_co_u32 v1, s0, s2, v1
	v_add_co_ci_u32_e64 v2, s0, s3, v2, s0
	v_sub_nc_u16 v108, v6, v4
	v_lshlrev_b32_sdwa v4, v3, v106 dst_sel:DWORD dst_unused:UNUSED_PAD src0_sel:DWORD src1_sel:BYTE_0
	v_sub_nc_u16 v7, v7, v5
	s_waitcnt lgkmcnt(0)
	s_barrier
	buffer_gl0_inv
	v_lshlrev_b32_sdwa v5, v3, v107 dst_sel:DWORD dst_unused:UNUSED_PAD src0_sel:DWORD src1_sel:BYTE_0
	s_clause 0x1
	global_load_dwordx4 v[40:43], v[1:2], off
	global_load_dwordx4 v[44:47], v4, s[2:3]
	v_lshlrev_b32_sdwa v1, v3, v108 dst_sel:DWORD dst_unused:UNUSED_PAD src0_sel:DWORD src1_sel:BYTE_0
	v_lshlrev_b32_sdwa v2, v3, v7 dst_sel:DWORD dst_unused:UNUSED_PAD src0_sel:DWORD src1_sel:BYTE_0
	s_clause 0x2
	global_load_dwordx4 v[48:51], v5, s[2:3]
	global_load_dwordx4 v[36:39], v1, s[2:3]
	;; [unrolled: 1-line block ×3, first 2 shown]
	v_add_lshl_u32 v166, v183, v255, 4
	ds_read_b128 v[28:31], v166 offset:2720
	ds_read_b128 v[52:55], v166 offset:3264
	;; [unrolled: 1-line block ×6, first 2 shown]
	ds_read_b128 v[72:75], v166
	ds_read_b128 v[76:79], v166 offset:544
	ds_read_b128 v[80:83], v166 offset:1088
	;; [unrolled: 1-line block ×3, first 2 shown]
	v_cmp_lt_u16_e64 s0, 16, v255
	s_waitcnt vmcnt(0) lgkmcnt(0)
	s_barrier
	buffer_gl0_inv
	s_mov_b32 s11, 0xbfee6f0e
	s_mov_b32 s17, 0xbfe2cf23
	;; [unrolled: 1-line block ×6, first 2 shown]
	v_mul_f64 v[1:2], v[30:31], v[42:43]
	v_mul_f64 v[3:4], v[28:29], v[42:43]
	;; [unrolled: 1-line block ×10, first 2 shown]
	v_fma_f64 v[1:2], v[28:29], v[40:41], -v[1:2]
	v_fma_f64 v[3:4], v[30:31], v[40:41], v[3:4]
	v_fma_f64 v[5:6], v[52:53], v[44:45], -v[5:6]
	v_fma_f64 v[54:55], v[54:55], v[44:45], v[88:89]
	;; [unrolled: 2-line block ×5, first 2 shown]
	v_add_f64 v[28:29], v[72:73], -v[1:2]
	v_add_f64 v[30:31], v[74:75], -v[3:4]
	;; [unrolled: 1-line block ×10, first 2 shown]
	v_cndmask_b32_e64 v3, 0, 34, s0
	v_mov_b32_e32 v4, 34
	v_mad_u16 v6, v102, 34, v106
	v_mad_u64_u32 v[1:2], null, 0x90, v255, s[2:3]
	v_add_nc_u32_e32 v0, v0, v3
	v_mul_u32_u24_sdwa v3, v103, v4 dst_sel:DWORD dst_unused:UNUSED_PAD src0_sel:WORD_0 src1_sel:DWORD
	v_mul_u32_u24_sdwa v5, v104, v4 dst_sel:DWORD dst_unused:UNUSED_PAD src0_sel:WORD_0 src1_sel:DWORD
	v_mul_u32_u24_sdwa v4, v105, v4 dst_sel:DWORD dst_unused:UNUSED_PAD src0_sel:WORD_0 src1_sel:DWORD
	s_mov_b32 s0, 0x134454ff
	v_add_lshl_u32 v172, v183, v0, 4
	v_add_nc_u32_sdwa v0, v3, v107 dst_sel:DWORD dst_unused:UNUSED_PAD src0_sel:DWORD src1_sel:BYTE_0
	v_fma_f64 v[72:73], v[72:73], 2.0, -v[28:29]
	v_fma_f64 v[74:75], v[74:75], 2.0, -v[30:31]
	;; [unrolled: 1-line block ×10, first 2 shown]
	v_add_nc_u32_sdwa v3, v5, v108 dst_sel:DWORD dst_unused:UNUSED_PAD src0_sel:DWORD src1_sel:BYTE_0
	v_and_b32_e32 v5, 0xff, v6
	v_add_nc_u32_sdwa v4, v4, v7 dst_sel:DWORD dst_unused:UNUSED_PAD src0_sel:DWORD src1_sel:BYTE_0
	v_add_lshl_u32 v170, v183, v0, 4
	s_mov_b32 s1, 0x3fee6f0e
	v_add_lshl_u32 v169, v183, v3, 4
	v_add_lshl_u32 v171, v183, v5, 4
	;; [unrolled: 1-line block ×3, first 2 shown]
	ds_write_b128 v172, v[28:31] offset:272
	ds_write_b128 v172, v[72:75]
	ds_write_b128 v171, v[52:55] offset:272
	ds_write_b128 v171, v[76:79]
	ds_write_b128 v170, v[80:83]
	ds_write_b128 v170, v[56:59] offset:272
	ds_write_b128 v169, v[84:87]
	ds_write_b128 v169, v[60:63] offset:272
	;; [unrolled: 2-line block ×3, first 2 shown]
	s_waitcnt lgkmcnt(0)
	s_barrier
	buffer_gl0_inv
	s_clause 0x8
	global_load_dwordx4 v[52:55], v[1:2], off offset:304
	global_load_dwordx4 v[60:63], v[1:2], off offset:336
	;; [unrolled: 1-line block ×9, first 2 shown]
	ds_read_b128 v[84:87], v166 offset:1632
	ds_read_b128 v[88:91], v166 offset:2720
	;; [unrolled: 1-line block ×9, first 2 shown]
	s_mov_b32 s10, s0
	s_mov_b32 s2, 0x4755a5e
	;; [unrolled: 1-line block ×4, first 2 shown]
	s_waitcnt vmcnt(8) lgkmcnt(8)
	v_mul_f64 v[0:1], v[86:87], v[54:55]
	s_waitcnt vmcnt(7) lgkmcnt(7)
	v_mul_f64 v[6:7], v[88:89], v[62:63]
	;; [unrolled: 2-line block ×4, first 2 shown]
	v_mul_f64 v[4:5], v[90:91], v[62:63]
	v_mul_f64 v[120:121], v[94:95], v[58:59]
	;; [unrolled: 1-line block ×3, first 2 shown]
	s_waitcnt vmcnt(4) lgkmcnt(4)
	v_mul_f64 v[129:130], v[102:103], v[30:31]
	s_waitcnt vmcnt(3) lgkmcnt(3)
	v_mul_f64 v[133:134], v[106:107], v[82:83]
	v_mul_f64 v[135:136], v[104:105], v[82:83]
	s_waitcnt vmcnt(2) lgkmcnt(2)
	v_mul_f64 v[137:138], v[110:111], v[78:79]
	;; [unrolled: 3-line block ×3, first 2 shown]
	v_mul_f64 v[2:3], v[84:85], v[54:55]
	v_mul_f64 v[131:132], v[100:101], v[30:31]
	;; [unrolled: 1-line block ×3, first 2 shown]
	s_waitcnt vmcnt(0) lgkmcnt(0)
	v_mul_f64 v[145:146], v[116:117], v[70:71]
	v_fma_f64 v[0:1], v[84:85], v[52:53], -v[0:1]
	v_fma_f64 v[6:7], v[90:91], v[60:61], v[6:7]
	v_fma_f64 v[90:91], v[94:95], v[56:57], v[122:123]
	v_fma_f64 v[94:95], v[96:97], v[64:65], -v[126:127]
	v_mul_f64 v[96:97], v[118:119], v[70:71]
	v_fma_f64 v[4:5], v[88:89], v[60:61], -v[4:5]
	v_fma_f64 v[88:89], v[92:93], v[56:57], -v[120:121]
	v_fma_f64 v[92:93], v[98:99], v[64:65], v[124:125]
	v_fma_f64 v[98:99], v[104:105], v[80:81], -v[133:134]
	v_fma_f64 v[104:105], v[106:107], v[80:81], v[135:136]
	;; [unrolled: 2-line block ×3, first 2 shown]
	v_fma_f64 v[110:111], v[112:113], v[72:73], -v[141:142]
	v_fma_f64 v[100:101], v[100:101], v[28:29], -v[129:130]
	v_fma_f64 v[2:3], v[86:87], v[52:53], v[2:3]
	ds_read_b128 v[84:87], v166
	v_fma_f64 v[112:113], v[114:115], v[72:73], v[143:144]
	v_fma_f64 v[114:115], v[118:119], v[68:69], v[145:146]
	;; [unrolled: 1-line block ×3, first 2 shown]
	v_add_f64 v[135:136], v[6:7], -v[90:91]
	v_add_f64 v[124:125], v[0:1], v[94:95]
	v_fma_f64 v[96:97], v[116:117], v[68:69], -v[96:97]
	v_add_f64 v[137:138], v[0:1], -v[94:95]
	v_add_f64 v[118:119], v[4:5], v[88:89]
	v_add_f64 v[159:160], v[0:1], -v[4:5]
	v_add_f64 v[163:164], v[4:5], -v[0:1]
	v_add_f64 v[120:121], v[6:7], v[90:91]
	v_add_f64 v[141:142], v[98:99], -v[106:107]
	v_add_f64 v[147:148], v[106:107], -v[98:99]
	v_add_f64 v[126:127], v[106:107], v[110:111]
	s_waitcnt lgkmcnt(0)
	v_add_f64 v[116:117], v[84:85], v[98:99]
	v_add_f64 v[0:1], v[100:101], v[0:1]
	;; [unrolled: 1-line block ×3, first 2 shown]
	v_add_f64 v[131:132], v[108:109], -v[112:113]
	v_add_f64 v[129:130], v[104:105], -v[114:115]
	;; [unrolled: 1-line block ×3, first 2 shown]
	v_add_f64 v[151:152], v[86:87], v[104:105]
	v_add_f64 v[155:156], v[106:107], -v[110:111]
	v_add_f64 v[175:176], v[2:3], -v[6:7]
	;; [unrolled: 1-line block ×3, first 2 shown]
	v_add_f64 v[2:3], v[102:103], v[2:3]
	v_add_f64 v[139:140], v[4:5], -v[88:89]
	v_fma_f64 v[124:125], v[124:125], -0.5, v[100:101]
	v_add_f64 v[145:146], v[98:99], v[96:97]
	v_add_f64 v[149:150], v[110:111], -v[96:97]
	v_fma_f64 v[118:119], v[118:119], -0.5, v[100:101]
	v_add_f64 v[153:154], v[108:109], v[112:113]
	v_add_f64 v[157:158], v[104:105], v[114:115]
	v_add_f64 v[173:174], v[88:89], -v[94:95]
	v_add_f64 v[191:192], v[104:105], -v[108:109]
	;; [unrolled: 1-line block ×3, first 2 shown]
	v_fma_f64 v[100:101], v[126:127], -0.5, v[84:85]
	v_add_f64 v[106:107], v[116:117], v[106:107]
	v_add_f64 v[0:1], v[0:1], v[4:5]
	v_add_f64 v[143:144], v[96:97], -v[110:111]
	v_add_f64 v[98:99], v[98:99], -v[96:97]
	;; [unrolled: 1-line block ×3, first 2 shown]
	v_fma_f64 v[120:121], v[120:121], -0.5, v[102:103]
	v_add_f64 v[108:109], v[151:152], v[108:109]
	v_fma_f64 v[122:123], v[122:123], -0.5, v[102:103]
	v_add_f64 v[177:178], v[92:93], -v[90:91]
	v_add_f64 v[181:182], v[90:91], -v[92:93]
	v_add_f64 v[2:3], v[2:3], v[6:7]
	v_add_f64 v[193:194], v[114:115], -v[112:113]
	v_fma_f64 v[187:188], v[135:136], s[0:1], v[124:125]
	v_fma_f64 v[84:85], v[145:146], -0.5, v[84:85]
	v_fma_f64 v[124:125], v[135:136], s[10:11], v[124:125]
	v_fma_f64 v[189:190], v[133:134], s[10:11], v[118:119]
	;; [unrolled: 1-line block ×3, first 2 shown]
	v_fma_f64 v[102:103], v[153:154], -0.5, v[86:87]
	v_add_f64 v[145:146], v[163:164], v[173:174]
	v_fma_f64 v[86:87], v[157:158], -0.5, v[86:87]
	v_add_f64 v[195:196], v[112:113], -v[114:115]
	v_fma_f64 v[4:5], v[129:130], s[0:1], v[100:101]
	v_fma_f64 v[6:7], v[129:130], s[10:11], v[100:101]
	v_add_f64 v[106:107], v[106:107], v[110:111]
	v_add_f64 v[0:1], v[0:1], v[88:89]
	;; [unrolled: 1-line block ×4, first 2 shown]
	v_fma_f64 v[183:184], v[137:138], s[10:11], v[120:121]
	v_add_f64 v[108:109], v[108:109], v[112:113]
	v_fma_f64 v[185:186], v[139:140], s[0:1], v[122:123]
	v_fma_f64 v[122:123], v[139:140], s[10:11], v[122:123]
	;; [unrolled: 1-line block ×3, first 2 shown]
	v_add_f64 v[153:154], v[175:176], v[177:178]
	v_add_f64 v[157:158], v[179:180], v[181:182]
	v_fma_f64 v[163:164], v[133:134], s[16:17], v[187:188]
	v_fma_f64 v[100:101], v[131:132], s[10:11], v[84:85]
	;; [unrolled: 1-line block ×4, first 2 shown]
	v_add_f64 v[133:134], v[147:148], v[149:150]
	v_fma_f64 v[173:174], v[135:136], s[16:17], v[189:190]
	v_fma_f64 v[118:119], v[135:136], s[2:3], v[118:119]
	;; [unrolled: 1-line block ×4, first 2 shown]
	v_add_f64 v[104:105], v[104:105], v[195:196]
	v_add_f64 v[2:3], v[2:3], v[90:91]
	;; [unrolled: 1-line block ×4, first 2 shown]
	v_fma_f64 v[4:5], v[131:132], s[2:3], v[4:5]
	v_fma_f64 v[6:7], v[131:132], s[16:17], v[6:7]
	;; [unrolled: 1-line block ×3, first 2 shown]
	v_add_f64 v[106:107], v[108:109], v[114:115]
	v_fma_f64 v[161:162], v[137:138], s[16:17], v[185:186]
	v_fma_f64 v[122:123], v[137:138], s[2:3], v[122:123]
	;; [unrolled: 1-line block ×11, first 2 shown]
	v_add_f64 v[126:127], v[191:192], v[193:194]
	v_fma_f64 v[90:91], v[155:156], s[16:17], v[135:136]
	v_fma_f64 v[100:101], v[155:156], s[2:3], v[102:103]
	v_add_f64 v[2:3], v[2:3], v[92:93]
	v_fma_f64 v[4:5], v[116:117], s[8:9], v[4:5]
	v_fma_f64 v[6:7], v[116:117], s[8:9], v[6:7]
	;; [unrolled: 1-line block ×8, first 2 shown]
	v_mul_f64 v[112:113], v[143:144], s[8:9]
	v_fma_f64 v[94:95], v[133:134], s[8:9], v[88:89]
	v_fma_f64 v[108:109], v[133:134], s[8:9], v[84:85]
	v_add_f64 v[84:85], v[96:97], v[0:1]
	v_add_f64 v[88:89], v[96:97], -v[0:1]
	buffer_load_dword v0, off, s[60:63], 0  ; 4-byte Folded Reload
	v_mul_f64 v[129:130], v[147:148], s[18:19]
	v_mul_f64 v[131:132], v[118:119], s[16:17]
	;; [unrolled: 1-line block ×3, first 2 shown]
	v_fma_f64 v[133:134], v[126:127], s[8:9], v[90:91]
	v_fma_f64 v[126:127], v[126:127], s[8:9], v[100:101]
	v_add_f64 v[90:91], v[106:107], -v[2:3]
	v_mul_f64 v[98:99], v[139:140], s[2:3]
	v_mul_f64 v[110:111], v[141:142], s[0:1]
	;; [unrolled: 1-line block ×4, first 2 shown]
	v_fma_f64 v[149:150], v[104:105], s[8:9], v[102:103]
	v_fma_f64 v[151:152], v[104:105], s[8:9], v[86:87]
	v_add_f64 v[86:87], v[106:107], v[2:3]
	v_fma_f64 v[92:93], v[118:119], s[18:19], v[98:99]
	v_fma_f64 v[98:99], v[124:125], s[8:9], v[110:111]
	v_fma_f64 v[110:111], v[122:123], s[0:1], -v[112:113]
	v_fma_f64 v[122:123], v[120:121], s[2:3], -v[129:130]
	v_fma_f64 v[124:125], v[139:140], s[18:19], v[131:132]
	v_fma_f64 v[129:130], v[141:142], s[8:9], v[135:136]
	v_fma_f64 v[131:132], v[143:144], s[10:11], -v[137:138]
	v_fma_f64 v[135:136], v[147:148], s[16:17], -v[145:146]
	v_add_f64 v[116:117], v[4:5], v[92:93]
	v_add_f64 v[92:93], v[4:5], -v[92:93]
	v_add_f64 v[112:113], v[94:95], v[98:99]
	v_add_f64 v[100:101], v[108:109], v[110:111]
	;; [unrolled: 1-line block ×7, first 2 shown]
	v_add_f64 v[96:97], v[94:95], -v[98:99]
	v_add_f64 v[120:121], v[108:109], -v[110:111]
	;; [unrolled: 1-line block ×7, first 2 shown]
	s_waitcnt vmcnt(0)
	v_lshl_add_u32 v167, v255, 4, v0
	v_lshl_add_u32 v165, v255, 4, v0
	ds_write_b128 v167, v[84:87]
	ds_write_b128 v165, v[88:91] offset:2720
	ds_write_b128 v165, v[116:119] offset:544
	;; [unrolled: 1-line block ×9, first 2 shown]
	s_waitcnt lgkmcnt(0)
	s_barrier
	buffer_gl0_inv
	s_and_saveexec_b32 s1, vcc_lo
	s_cbranch_execz .LBB0_9
; %bb.8:
	v_lshlrev_b32_e32 v5, 4, v255
	s_add_u32 s2, s12, 0x1540
	s_addc_u32 s3, s13, 0
	s_clause 0x6
	global_load_dwordx4 v[124:127], v5, s[2:3]
	global_load_dwordx4 v[129:132], v5, s[2:3] offset:320
	global_load_dwordx4 v[133:136], v5, s[2:3] offset:640
	;; [unrolled: 1-line block ×6, first 2 shown]
	v_add_co_u32 v2, s0, s2, v5
	v_add_co_ci_u32_e64 v3, null, s3, 0, s0
	v_or_b32_e32 v4, 0xa00, v5
	v_add_co_u32 v0, s0, 0x800, v2
	v_add_co_ci_u32_e64 v1, s0, 0, v3, s0
	v_add_co_u32 v2, s0, 0x1000, v2
	v_add_co_ci_u32_e64 v3, s0, 0, v3, s0
	s_clause 0x7
	global_load_dwordx4 v[153:156], v[0:1], off offset:192
	global_load_dwordx4 v[157:160], v4, s[2:3]
	global_load_dwordx4 v[161:164], v[0:1], off offset:832
	global_load_dwordx4 v[173:176], v[0:1], off offset:1152
	;; [unrolled: 1-line block ×6, first 2 shown]
	v_or_b32_e32 v0, 0x1400, v5
	s_clause 0x1
	global_load_dwordx4 v[193:196], v[2:3], off offset:704
	global_load_dwordx4 v[197:200], v0, s[2:3]
	ds_read_b128 v[201:204], v167
	s_waitcnt vmcnt(16) lgkmcnt(0)
	v_mul_f64 v[0:1], v[203:204], v[126:127]
	v_mul_f64 v[2:3], v[201:202], v[126:127]
	v_fma_f64 v[201:202], v[201:202], v[124:125], -v[0:1]
	v_fma_f64 v[203:204], v[203:204], v[124:125], v[2:3]
	ds_write_b128 v167, v[201:204]
	ds_read_b128 v[124:127], v165 offset:320
	ds_read_b128 v[201:204], v165 offset:640
	;; [unrolled: 1-line block ×8, first 2 shown]
	s_waitcnt vmcnt(15) lgkmcnt(7)
	v_mul_f64 v[0:1], v[126:127], v[131:132]
	v_mul_f64 v[2:3], v[124:125], v[131:132]
	s_waitcnt vmcnt(14) lgkmcnt(6)
	v_mul_f64 v[4:5], v[203:204], v[135:136]
	v_mul_f64 v[6:7], v[201:202], v[135:136]
	;; [unrolled: 3-line block ×5, first 2 shown]
	s_waitcnt vmcnt(10) lgkmcnt(2)
	v_mul_f64 v[237:238], v[219:220], v[151:152]
	v_fma_f64 v[124:125], v[124:125], v[129:130], -v[0:1]
	v_fma_f64 v[126:127], v[126:127], v[129:130], v[2:3]
	ds_read_b128 v[129:132], v165 offset:2880
	v_mul_f64 v[0:1], v[217:218], v[151:152]
	v_fma_f64 v[201:202], v[201:202], v[133:134], -v[4:5]
	v_fma_f64 v[203:204], v[203:204], v[133:134], v[6:7]
	ds_read_b128 v[133:136], v165 offset:3200
	s_waitcnt vmcnt(9) lgkmcnt(3)
	v_mul_f64 v[2:3], v[223:224], v[155:156]
	v_mul_f64 v[4:5], v[221:222], v[155:156]
	s_waitcnt vmcnt(8) lgkmcnt(2)
	v_mul_f64 v[6:7], v[227:228], v[159:160]
	v_fma_f64 v[205:206], v[205:206], v[137:138], -v[229:230]
	v_fma_f64 v[207:208], v[207:208], v[137:138], v[139:140]
	ds_read_b128 v[137:140], v165 offset:3520
	ds_read_b128 v[229:232], v165 offset:3840
	v_mul_f64 v[155:156], v[225:226], v[159:160]
	v_fma_f64 v[209:210], v[209:210], v[141:142], -v[233:234]
	v_fma_f64 v[211:212], v[211:212], v[141:142], v[143:144]
	v_fma_f64 v[141:142], v[213:214], v[145:146], -v[235:236]
	v_fma_f64 v[143:144], v[215:216], v[145:146], v[147:148]
	ds_read_b128 v[145:148], v165 offset:4160
	ds_read_b128 v[213:216], v165 offset:4480
	v_fma_f64 v[217:218], v[217:218], v[149:150], -v[237:238]
	s_waitcnt vmcnt(7) lgkmcnt(5)
	v_mul_f64 v[159:160], v[131:132], v[163:164]
	v_mul_f64 v[163:164], v[129:130], v[163:164]
	v_fma_f64 v[219:220], v[219:220], v[149:150], v[0:1]
	s_waitcnt vmcnt(6) lgkmcnt(4)
	v_mul_f64 v[0:1], v[135:136], v[175:176]
	ds_read_b128 v[149:152], v165 offset:4800
	ds_read_b128 v[233:236], v165 offset:5120
	v_fma_f64 v[221:222], v[221:222], v[153:154], -v[2:3]
	v_mul_f64 v[2:3], v[133:134], v[175:176]
	v_fma_f64 v[223:224], v[223:224], v[153:154], v[4:5]
	s_waitcnt vmcnt(5) lgkmcnt(5)
	v_mul_f64 v[4:5], v[139:140], v[179:180]
	v_mul_f64 v[175:176], v[137:138], v[179:180]
	s_waitcnt vmcnt(4) lgkmcnt(4)
	v_mul_f64 v[179:180], v[231:232], v[183:184]
	v_fma_f64 v[153:154], v[225:226], v[157:158], -v[6:7]
	v_mul_f64 v[6:7], v[229:230], v[183:184]
	s_waitcnt vmcnt(3) lgkmcnt(3)
	v_mul_f64 v[183:184], v[147:148], v[187:188]
	v_mul_f64 v[187:188], v[145:146], v[187:188]
	s_waitcnt vmcnt(2) lgkmcnt(2)
	v_mul_f64 v[225:226], v[215:216], v[191:192]
	v_fma_f64 v[155:156], v[227:228], v[157:158], v[155:156]
	v_fma_f64 v[129:130], v[129:130], v[161:162], -v[159:160]
	v_fma_f64 v[131:132], v[131:132], v[161:162], v[163:164]
	v_mul_f64 v[163:164], v[213:214], v[191:192]
	s_waitcnt vmcnt(1) lgkmcnt(1)
	v_mul_f64 v[191:192], v[151:152], v[195:196]
	v_mul_f64 v[195:196], v[149:150], v[195:196]
	s_waitcnt vmcnt(0) lgkmcnt(0)
	v_mul_f64 v[227:228], v[235:236], v[199:200]
	v_fma_f64 v[133:134], v[133:134], v[173:174], -v[0:1]
	v_mul_f64 v[0:1], v[233:234], v[199:200]
	v_fma_f64 v[135:136], v[135:136], v[173:174], v[2:3]
	v_fma_f64 v[137:138], v[137:138], v[177:178], -v[4:5]
	v_fma_f64 v[139:140], v[139:140], v[177:178], v[175:176]
	v_fma_f64 v[157:158], v[229:230], v[181:182], -v[179:180]
	;; [unrolled: 2-line block ×6, first 2 shown]
	v_fma_f64 v[175:176], v[235:236], v[197:198], v[0:1]
	ds_write_b128 v165, v[124:127] offset:320
	ds_write_b128 v165, v[201:204] offset:640
	;; [unrolled: 1-line block ×16, first 2 shown]
.LBB0_9:
	s_or_b32 exec_lo, exec_lo, s1
	s_waitcnt lgkmcnt(0)
	s_barrier
	buffer_gl0_inv
	s_and_saveexec_b32 s0, vcc_lo
	s_cbranch_execz .LBB0_11
; %bb.10:
	ds_read_b128 v[84:87], v167
	ds_read_b128 v[116:119], v167 offset:320
	ds_read_b128 v[112:115], v167 offset:640
	;; [unrolled: 1-line block ×11, first 2 shown]
	s_waitcnt lgkmcnt(0)
	buffer_store_dword v0, off, s[60:63], 0 offset:84 ; 4-byte Folded Spill
	buffer_store_dword v1, off, s[60:63], 0 offset:88 ; 4-byte Folded Spill
	buffer_store_dword v2, off, s[60:63], 0 offset:92 ; 4-byte Folded Spill
	buffer_store_dword v3, off, s[60:63], 0 offset:96 ; 4-byte Folded Spill
	ds_read_b128 v[0:3], v167 offset:3840
	s_waitcnt lgkmcnt(0)
	buffer_store_dword v0, off, s[60:63], 0 offset:68 ; 4-byte Folded Spill
	buffer_store_dword v1, off, s[60:63], 0 offset:72 ; 4-byte Folded Spill
	buffer_store_dword v2, off, s[60:63], 0 offset:76 ; 4-byte Folded Spill
	buffer_store_dword v3, off, s[60:63], 0 offset:80 ; 4-byte Folded Spill
	ds_read_b128 v[0:3], v167 offset:4160
	;; [unrolled: 6-line block ×5, first 2 shown]
	s_waitcnt lgkmcnt(0)
	buffer_store_dword v0, off, s[60:63], 0 offset:4 ; 4-byte Folded Spill
	buffer_store_dword v1, off, s[60:63], 0 offset:8 ; 4-byte Folded Spill
	;; [unrolled: 1-line block ×4, first 2 shown]
.LBB0_11:
	s_or_b32 exec_lo, exec_lo, s0
	s_waitcnt_vscnt null, 0x0
	s_barrier
	buffer_gl0_inv
	s_and_saveexec_b32 s33, vcc_lo
	s_cbranch_execz .LBB0_13
; %bb.12:
	s_clause 0x17
	buffer_load_dword v205, off, s[60:63], 0 offset:4
	buffer_load_dword v206, off, s[60:63], 0 offset:8
	;; [unrolled: 1-line block ×24, first 2 shown]
	v_add_f64 v[0:1], v[86:87], v[118:119]
	v_add_f64 v[2:3], v[84:85], v[116:117]
	s_mov_b32 s2, 0xacd6c6b4
	s_mov_b32 s3, 0xbfc7851a
	;; [unrolled: 1-line block ×14, first 2 shown]
	v_add_f64 v[124:125], v[96:97], -v[8:9]
	s_mov_b32 s20, 0x75d4884
	s_mov_b32 s21, 0x3fe7a5f6
	;; [unrolled: 1-line block ×5, first 2 shown]
	v_add_f64 v[0:1], v[0:1], v[114:115]
	v_add_f64 v[2:3], v[2:3], v[112:113]
	s_mov_b32 s31, 0x3feca52d
	s_mov_b32 s38, 0x923c349f
	;; [unrolled: 1-line block ×20, first 2 shown]
	v_add_f64 v[0:1], v[0:1], v[102:103]
	v_add_f64 v[2:3], v[2:3], v[100:101]
	s_mov_b32 s50, s22
	s_mov_b32 s53, 0xbfeca52d
	;; [unrolled: 1-line block ×5, first 2 shown]
	v_add_f64 v[0:1], v[0:1], v[106:107]
	v_add_f64 v[2:3], v[2:3], v[104:105]
	v_add_f64 v[0:1], v[0:1], v[90:91]
	v_add_f64 v[2:3], v[2:3], v[88:89]
	v_add_f64 v[0:1], v[0:1], v[94:95]
	v_add_f64 v[2:3], v[2:3], v[92:93]
	v_add_f64 v[0:1], v[0:1], v[98:99]
	v_add_f64 v[2:3], v[2:3], v[96:97]
	v_add_f64 v[0:1], v[0:1], v[122:123]
	v_add_f64 v[2:3], v[2:3], v[120:121]
	v_add_f64 v[0:1], v[0:1], v[110:111]
	v_add_f64 v[2:3], v[2:3], v[108:109]
	v_add_f64 v[0:1], v[0:1], v[10:11]
	v_add_f64 v[2:3], v[2:3], v[8:9]
	s_waitcnt vmcnt(22)
	v_add_f64 v[157:158], v[116:117], -v[205:206]
	s_waitcnt vmcnt(20)
	v_add_f64 v[159:160], v[118:119], -v[207:208]
	;; [unrolled: 2-line block ×3, first 2 shown]
	v_add_f64 v[161:162], v[118:119], v[207:208]
	s_waitcnt vmcnt(16)
	v_add_f64 v[131:132], v[114:115], -v[197:198]
	v_add_f64 v[163:164], v[116:117], v[205:206]
	s_waitcnt vmcnt(6)
	v_add_f64 v[135:136], v[100:101], -v[191:192]
	;; [unrolled: 3-line block ×5, first 2 shown]
	v_add_f64 v[151:152], v[100:101], v[191:192]
	v_add_f64 v[118:119], v[120:121], -v[108:109]
	v_add_f64 v[116:117], v[122:123], v[110:111]
	v_add_f64 v[126:127], v[92:93], -v[20:21]
	v_add_f64 v[129:130], v[88:89], -v[16:17]
	v_add_f64 v[112:113], v[90:91], v[18:19]
	v_add_f64 v[100:101], v[120:121], v[108:109]
	v_add_f64 v[102:103], v[122:123], -v[110:111]
	v_add_f64 v[147:148], v[106:107], v[14:15]
	v_mul_f64 v[4:5], v[157:158], s[2:3]
	v_mul_f64 v[6:7], v[159:160], s[2:3]
	;; [unrolled: 1-line block ×3, first 2 shown]
	v_add_f64 v[122:123], v[104:105], v[12:13]
	v_mul_f64 v[173:174], v[131:132], s[8:9]
	v_add_f64 v[106:107], v[98:99], v[10:11]
	v_mul_f64 v[175:176], v[135:136], s[16:17]
	;; [unrolled: 2-line block ×3, first 2 shown]
	v_add_f64 v[108:109], v[92:93], v[20:21]
	v_add_f64 v[110:111], v[98:99], -v[10:11]
	v_add_f64 v[104:105], v[96:97], v[8:9]
	v_add_f64 v[0:1], v[0:1], v[22:23]
	;; [unrolled: 1-line block ×3, first 2 shown]
	v_mul_f64 v[20:21], v[133:134], s[48:49]
	v_fma_f64 v[149:150], v[161:162], s[0:1], v[4:5]
	v_fma_f64 v[155:156], v[163:164], s[0:1], -v[6:7]
	v_fma_f64 v[4:5], v[161:162], s[0:1], -v[4:5]
	v_fma_f64 v[6:7], v[163:164], s[0:1], v[6:7]
	v_fma_f64 v[179:180], v[139:140], s[10:11], v[145:146]
	v_fma_f64 v[183:184], v[137:138], s[10:11], -v[173:174]
	v_fma_f64 v[187:188], v[139:140], s[10:11], -v[145:146]
	v_add_f64 v[145:146], v[94:95], -v[22:23]
	v_fma_f64 v[94:95], v[153:154], s[18:19], v[175:176]
	v_fma_f64 v[98:99], v[151:152], s[18:19], -v[177:178]
	v_fma_f64 v[175:176], v[153:154], s[18:19], -v[175:176]
	v_fma_f64 v[177:178], v[151:152], s[18:19], v[177:178]
	v_add_f64 v[0:1], v[0:1], v[18:19]
	v_add_f64 v[2:3], v[2:3], v[16:17]
	;; [unrolled: 1-line block ×5, first 2 shown]
	v_add_f64 v[155:156], v[90:91], -v[18:19]
	v_add_f64 v[149:150], v[88:89], v[16:17]
	v_mul_f64 v[88:89], v[143:144], s[22:23]
	v_fma_f64 v[90:91], v[137:138], s[10:11], v[173:174]
	v_add_f64 v[6:7], v[84:85], v[6:7]
	v_mul_f64 v[173:174], v[141:142], s[22:23]
	v_fma_f64 v[16:17], v[139:140], s[36:37], v[20:21]
	v_fma_f64 v[20:21], v[139:140], s[36:37], -v[20:21]
	v_add_f64 v[0:1], v[0:1], v[14:15]
	v_add_f64 v[2:3], v[2:3], v[12:13]
	v_add_f64 v[92:93], v[179:180], v[181:182]
	v_add_f64 v[96:97], v[183:184], v[185:186]
	v_add_f64 v[4:5], v[187:188], v[4:5]
	v_add_f64 v[6:7], v[90:91], v[6:7]
	v_mul_f64 v[90:91], v[129:130], s[26:27]
	v_add_f64 v[0:1], v[0:1], v[193:194]
	v_add_f64 v[2:3], v[2:3], v[191:192]
	;; [unrolled: 1-line block ×3, first 2 shown]
	v_fma_f64 v[94:95], v[147:148], s[20:21], v[88:89]
	v_add_f64 v[96:97], v[98:99], v[96:97]
	v_fma_f64 v[98:99], v[122:123], s[20:21], -v[173:174]
	v_add_f64 v[4:5], v[175:176], v[4:5]
	v_mul_f64 v[175:176], v[155:156], s[26:27]
	v_fma_f64 v[88:89], v[147:148], s[20:21], -v[88:89]
	v_fma_f64 v[173:174], v[122:123], s[20:21], v[173:174]
	v_add_f64 v[6:7], v[177:178], v[6:7]
	v_mul_f64 v[177:178], v[126:127], s[30:31]
	v_add_f64 v[0:1], v[0:1], v[197:198]
	v_add_f64 v[2:3], v[2:3], v[195:196]
	;; [unrolled: 1-line block ×3, first 2 shown]
	v_fma_f64 v[94:95], v[112:113], s[24:25], v[90:91]
	v_add_f64 v[96:97], v[98:99], v[96:97]
	v_fma_f64 v[90:91], v[112:113], s[24:25], -v[90:91]
	v_fma_f64 v[98:99], v[149:150], s[24:25], -v[175:176]
	v_add_f64 v[4:5], v[88:89], v[4:5]
	v_mul_f64 v[88:89], v[145:146], s[30:31]
	v_fma_f64 v[175:176], v[149:150], s[24:25], v[175:176]
	v_add_f64 v[6:7], v[173:174], v[6:7]
	v_mul_f64 v[173:174], v[124:125], s[38:39]
	v_add_f64 v[92:93], v[94:95], v[92:93]
	v_fma_f64 v[94:95], v[120:121], s[28:29], v[177:178]
	v_fma_f64 v[177:178], v[120:121], s[28:29], -v[177:178]
	v_add_f64 v[96:97], v[98:99], v[96:97]
	v_add_f64 v[4:5], v[90:91], v[4:5]
	v_fma_f64 v[98:99], v[108:109], s[28:29], -v[88:89]
	v_mul_f64 v[90:91], v[110:111], s[38:39]
	v_fma_f64 v[88:89], v[108:109], s[28:29], v[88:89]
	v_add_f64 v[6:7], v[175:176], v[6:7]
	v_mul_f64 v[175:176], v[118:119], s[42:43]
	v_add_f64 v[92:93], v[94:95], v[92:93]
	v_mul_f64 v[94:95], v[102:103], s[42:43]
	v_add_f64 v[4:5], v[177:178], v[4:5]
	v_add_f64 v[96:97], v[98:99], v[96:97]
	v_fma_f64 v[98:99], v[106:107], s[36:37], v[173:174]
	v_fma_f64 v[177:178], v[104:105], s[36:37], -v[90:91]
	v_add_f64 v[6:7], v[88:89], v[6:7]
	v_mul_f64 v[88:89], v[157:158], s[16:17]
	v_fma_f64 v[173:174], v[106:107], s[36:37], -v[173:174]
	v_fma_f64 v[90:91], v[104:105], s[36:37], v[90:91]
	v_fma_f64 v[24:25], v[116:117], s[34:35], v[175:176]
	v_fma_f64 v[175:176], v[116:117], s[34:35], -v[175:176]
	v_fma_f64 v[179:180], v[100:101], s[34:35], -v[94:95]
	v_fma_f64 v[94:95], v[100:101], s[34:35], v[94:95]
	v_add_f64 v[26:27], v[98:99], v[92:93]
	v_add_f64 v[92:93], v[177:178], v[96:97]
	v_mul_f64 v[96:97], v[159:160], s[16:17]
	v_mul_f64 v[98:99], v[133:134], s[30:31]
	v_add_f64 v[4:5], v[173:174], v[4:5]
	v_mul_f64 v[173:174], v[131:132], s[30:31]
	v_add_f64 v[6:7], v[90:91], v[6:7]
	v_fma_f64 v[90:91], v[161:162], s[18:19], v[88:89]
	v_add_f64 v[26:27], v[24:25], v[26:27]
	v_add_f64 v[24:25], v[179:180], v[92:93]
	v_fma_f64 v[92:93], v[163:164], s[18:19], -v[96:97]
	v_fma_f64 v[177:178], v[139:140], s[28:29], v[98:99]
	v_fma_f64 v[179:180], v[161:162], s[18:19], -v[88:89]
	v_fma_f64 v[96:97], v[163:164], s[18:19], v[96:97]
	v_add_f64 v[88:89], v[94:95], v[6:7]
	v_add_f64 v[181:182], v[86:87], v[90:91]
	;; [unrolled: 1-line block ×3, first 2 shown]
	v_fma_f64 v[4:5], v[137:138], s[28:29], -v[173:174]
	v_fma_f64 v[94:95], v[139:140], s[28:29], -v[98:99]
	v_fma_f64 v[98:99], v[137:138], s[28:29], v[173:174]
	v_add_f64 v[6:7], v[84:85], v[92:93]
	v_mul_f64 v[92:93], v[135:136], s[40:41]
	v_add_f64 v[173:174], v[86:87], v[179:180]
	v_add_f64 v[96:97], v[84:85], v[96:97]
	v_add_f64 v[175:176], v[177:178], v[181:182]
	v_mul_f64 v[177:178], v[114:115], s[40:41]
	v_add_f64 v[4:5], v[4:5], v[6:7]
	v_fma_f64 v[6:7], v[153:154], s[34:35], v[92:93]
	v_add_f64 v[94:95], v[94:95], v[173:174]
	v_mul_f64 v[173:174], v[143:144], s[46:47]
	v_add_f64 v[96:97], v[98:99], v[96:97]
	v_fma_f64 v[92:93], v[153:154], s[34:35], -v[92:93]
	v_fma_f64 v[98:99], v[151:152], s[34:35], -v[177:178]
	v_fma_f64 v[177:178], v[151:152], s[34:35], v[177:178]
	v_add_f64 v[6:7], v[6:7], v[175:176]
	v_mul_f64 v[175:176], v[141:142], s[46:47]
	v_add_f64 v[92:93], v[92:93], v[94:95]
	v_add_f64 v[4:5], v[98:99], v[4:5]
	v_fma_f64 v[98:99], v[147:148], s[24:25], v[173:174]
	v_add_f64 v[96:97], v[177:178], v[96:97]
	v_mul_f64 v[177:178], v[129:130], s[44:45]
	v_fma_f64 v[173:174], v[147:148], s[24:25], -v[173:174]
	v_fma_f64 v[94:95], v[122:123], s[24:25], -v[175:176]
	v_fma_f64 v[175:176], v[122:123], s[24:25], v[175:176]
	v_add_f64 v[6:7], v[98:99], v[6:7]
	v_mul_f64 v[98:99], v[155:156], s[44:45]
	v_add_f64 v[92:93], v[173:174], v[92:93]
	v_add_f64 v[4:5], v[94:95], v[4:5]
	v_fma_f64 v[94:95], v[112:113], s[10:11], v[177:178]
	v_fma_f64 v[177:178], v[112:113], s[10:11], -v[177:178]
	v_add_f64 v[96:97], v[175:176], v[96:97]
	v_mul_f64 v[175:176], v[124:125], s[22:23]
	v_fma_f64 v[173:174], v[149:150], s[10:11], -v[98:99]
	v_fma_f64 v[98:99], v[149:150], s[10:11], v[98:99]
	v_add_f64 v[6:7], v[94:95], v[6:7]
	v_mul_f64 v[94:95], v[126:127], s[2:3]
	v_add_f64 v[92:93], v[177:178], v[92:93]
	v_fma_f64 v[177:178], v[106:107], s[20:21], v[175:176]
	v_fma_f64 v[175:176], v[106:107], s[20:21], -v[175:176]
	v_add_f64 v[4:5], v[173:174], v[4:5]
	v_add_f64 v[96:97], v[98:99], v[96:97]
	v_mul_f64 v[98:99], v[110:111], s[22:23]
	v_fma_f64 v[173:174], v[120:121], s[0:1], v[94:95]
	v_fma_f64 v[94:95], v[120:121], s[0:1], -v[94:95]
	v_add_f64 v[6:7], v[173:174], v[6:7]
	v_mul_f64 v[173:174], v[145:146], s[2:3]
	v_add_f64 v[92:93], v[94:95], v[92:93]
	v_mul_f64 v[94:95], v[118:119], s[38:39]
	v_add_f64 v[6:7], v[177:178], v[6:7]
	v_fma_f64 v[179:180], v[108:109], s[0:1], -v[173:174]
	v_fma_f64 v[173:174], v[108:109], s[0:1], v[173:174]
	v_fma_f64 v[177:178], v[104:105], s[20:21], -v[98:99]
	v_fma_f64 v[98:99], v[104:105], s[20:21], v[98:99]
	v_add_f64 v[175:176], v[175:176], v[92:93]
	v_add_f64 v[4:5], v[179:180], v[4:5]
	;; [unrolled: 1-line block ×3, first 2 shown]
	v_mul_f64 v[173:174], v[102:103], s[38:39]
	v_add_f64 v[4:5], v[177:178], v[4:5]
	v_fma_f64 v[177:178], v[116:117], s[36:37], v[94:95]
	v_fma_f64 v[92:93], v[100:101], s[36:37], -v[173:174]
	v_add_f64 v[96:97], v[98:99], v[96:97]
	v_fma_f64 v[98:99], v[116:117], s[36:37], -v[94:95]
	v_fma_f64 v[173:174], v[100:101], s[36:37], v[173:174]
	v_add_f64 v[94:95], v[177:178], v[6:7]
	v_add_f64 v[92:93], v[92:93], v[4:5]
	v_mul_f64 v[4:5], v[157:158], s[26:27]
	v_mul_f64 v[6:7], v[159:160], s[26:27]
	v_add_f64 v[98:99], v[98:99], v[175:176]
	v_add_f64 v[96:97], v[173:174], v[96:97]
	v_mul_f64 v[175:176], v[131:132], s[48:49]
	v_mul_f64 v[177:178], v[135:136], s[44:45]
	v_fma_f64 v[22:23], v[161:162], s[24:25], v[4:5]
	v_fma_f64 v[173:174], v[163:164], s[24:25], -v[6:7]
	v_fma_f64 v[4:5], v[161:162], s[24:25], -v[4:5]
	v_fma_f64 v[6:7], v[163:164], s[24:25], v[6:7]
	v_add_f64 v[18:19], v[86:87], v[22:23]
	v_add_f64 v[22:23], v[84:85], v[173:174]
	v_fma_f64 v[173:174], v[137:138], s[36:37], -v[175:176]
	v_add_f64 v[4:5], v[86:87], v[4:5]
	v_add_f64 v[6:7], v[84:85], v[6:7]
	;; [unrolled: 1-line block ×4, first 2 shown]
	v_fma_f64 v[22:23], v[153:154], s[10:11], v[177:178]
	v_mul_f64 v[173:174], v[114:115], s[44:45]
	v_add_f64 v[4:5], v[20:21], v[4:5]
	v_fma_f64 v[20:21], v[137:138], s[36:37], v[175:176]
	v_add_f64 v[16:17], v[22:23], v[16:17]
	v_fma_f64 v[22:23], v[151:152], s[10:11], -v[173:174]
	v_add_f64 v[6:7], v[20:21], v[6:7]
	v_fma_f64 v[20:21], v[153:154], s[10:11], -v[177:178]
	v_add_f64 v[18:19], v[22:23], v[18:19]
	v_mul_f64 v[22:23], v[143:144], s[16:17]
	v_add_f64 v[4:5], v[20:21], v[4:5]
	v_fma_f64 v[20:21], v[151:152], s[10:11], v[173:174]
	v_fma_f64 v[179:180], v[147:148], s[18:19], v[22:23]
	v_add_f64 v[6:7], v[20:21], v[6:7]
	v_fma_f64 v[20:21], v[147:148], s[18:19], -v[22:23]
	v_mul_f64 v[22:23], v[124:125], s[2:3]
	v_add_f64 v[16:17], v[179:180], v[16:17]
	v_mul_f64 v[179:180], v[141:142], s[16:17]
	v_add_f64 v[4:5], v[20:21], v[4:5]
	v_fma_f64 v[181:182], v[122:123], s[18:19], -v[179:180]
	v_fma_f64 v[20:21], v[122:123], s[18:19], v[179:180]
	v_mul_f64 v[179:180], v[157:158], s[40:41]
	v_add_f64 v[18:19], v[181:182], v[18:19]
	v_mul_f64 v[181:182], v[129:130], s[42:43]
	v_add_f64 v[6:7], v[20:21], v[6:7]
	v_fma_f64 v[8:9], v[161:162], s[34:35], v[179:180]
	v_fma_f64 v[10:11], v[161:162], s[34:35], -v[179:180]
	v_mul_f64 v[179:180], v[159:160], s[40:41]
	v_fma_f64 v[183:184], v[112:113], s[34:35], v[181:182]
	v_fma_f64 v[20:21], v[112:113], s[34:35], -v[181:182]
	v_mul_f64 v[181:182], v[159:160], s[52:53]
	v_add_f64 v[8:9], v[86:87], v[8:9]
	v_add_f64 v[10:11], v[86:87], v[10:11]
	;; [unrolled: 1-line block ×3, first 2 shown]
	v_mul_f64 v[183:184], v[155:156], s[42:43]
	v_add_f64 v[4:5], v[20:21], v[4:5]
	v_fma_f64 v[20:21], v[106:107], s[0:1], v[22:23]
	v_fma_f64 v[22:23], v[106:107], s[0:1], -v[22:23]
	v_fma_f64 v[185:186], v[149:150], s[34:35], -v[183:184]
	v_fma_f64 v[173:174], v[149:150], s[34:35], v[183:184]
	v_mul_f64 v[183:184], v[159:160], s[50:51]
	v_add_f64 v[18:19], v[185:186], v[18:19]
	v_mul_f64 v[185:186], v[126:127], s[50:51]
	v_add_f64 v[6:7], v[173:174], v[6:7]
	v_mul_f64 v[173:174], v[110:111], s[2:3]
	v_fma_f64 v[191:192], v[163:164], s[20:21], v[183:184]
	v_fma_f64 v[183:184], v[163:164], s[20:21], -v[183:184]
	v_fma_f64 v[187:188], v[120:121], s[20:21], v[185:186]
	v_fma_f64 v[175:176], v[120:121], s[20:21], -v[185:186]
	v_add_f64 v[191:192], v[84:85], v[191:192]
	v_add_f64 v[183:184], v[84:85], v[183:184]
	;; [unrolled: 1-line block ×3, first 2 shown]
	v_mul_f64 v[187:188], v[145:146], s[50:51]
	v_add_f64 v[4:5], v[175:176], v[4:5]
	v_mul_f64 v[175:176], v[118:119], s[30:31]
	v_add_f64 v[16:17], v[20:21], v[16:17]
	v_fma_f64 v[189:190], v[108:109], s[20:21], -v[187:188]
	v_fma_f64 v[177:178], v[108:109], s[20:21], v[187:188]
	v_fma_f64 v[20:21], v[104:105], s[0:1], -v[173:174]
	v_fma_f64 v[173:174], v[104:105], s[0:1], v[173:174]
	v_add_f64 v[4:5], v[22:23], v[4:5]
	v_fma_f64 v[187:188], v[163:164], s[34:35], -v[179:180]
	v_fma_f64 v[179:180], v[163:164], s[34:35], v[179:180]
	v_add_f64 v[18:19], v[189:190], v[18:19]
	v_add_f64 v[6:7], v[177:178], v[6:7]
	v_mul_f64 v[177:178], v[102:103], s[30:31]
	v_fma_f64 v[189:190], v[163:164], s[28:29], -v[181:182]
	v_fma_f64 v[181:182], v[163:164], s[28:29], v[181:182]
	v_add_f64 v[179:180], v[84:85], v[179:180]
	v_add_f64 v[18:19], v[20:21], v[18:19]
	v_fma_f64 v[20:21], v[116:117], s[28:29], v[175:176]
	v_fma_f64 v[22:23], v[100:101], s[28:29], -v[177:178]
	v_fma_f64 v[175:176], v[116:117], s[28:29], -v[175:176]
	v_fma_f64 v[177:178], v[100:101], s[28:29], v[177:178]
	v_add_f64 v[6:7], v[173:174], v[6:7]
	v_mul_f64 v[173:174], v[157:158], s[38:39]
	v_add_f64 v[181:182], v[84:85], v[181:182]
	v_add_f64 v[14:15], v[20:21], v[16:17]
	v_mul_f64 v[20:21], v[157:158], s[52:53]
	v_add_f64 v[12:13], v[22:23], v[18:19]
	v_mul_f64 v[22:23], v[157:158], s[50:51]
	v_mul_f64 v[157:158], v[157:158], s[44:45]
	v_add_f64 v[18:19], v[175:176], v[4:5]
	v_add_f64 v[16:17], v[177:178], v[6:7]
	v_fma_f64 v[4:5], v[161:162], s[36:37], -v[173:174]
	v_fma_f64 v[6:7], v[161:162], s[36:37], v[173:174]
	v_fma_f64 v[173:174], v[161:162], s[28:29], v[20:21]
	v_fma_f64 v[20:21], v[161:162], s[28:29], -v[20:21]
	v_fma_f64 v[175:176], v[161:162], s[20:21], -v[22:23]
	v_fma_f64 v[22:23], v[161:162], s[20:21], v[22:23]
	v_fma_f64 v[177:178], v[161:162], s[10:11], -v[157:158]
	v_fma_f64 v[157:158], v[161:162], s[10:11], v[157:158]
	v_mul_f64 v[161:162], v[159:160], s[38:39]
	v_mul_f64 v[159:160], v[159:160], s[44:45]
	v_add_f64 v[4:5], v[86:87], v[4:5]
	v_add_f64 v[6:7], v[86:87], v[6:7]
	v_add_f64 v[173:174], v[86:87], v[173:174]
	v_add_f64 v[20:21], v[86:87], v[20:21]
	v_add_f64 v[175:176], v[86:87], v[175:176]
	v_add_f64 v[22:23], v[86:87], v[22:23]
	v_add_f64 v[177:178], v[86:87], v[177:178]
	v_add_f64 v[86:87], v[86:87], v[157:158]
	v_fma_f64 v[185:186], v[163:164], s[36:37], -v[161:162]
	v_fma_f64 v[161:162], v[163:164], s[36:37], v[161:162]
	v_fma_f64 v[193:194], v[163:164], s[10:11], v[159:160]
	v_fma_f64 v[159:160], v[163:164], s[10:11], -v[159:160]
	v_mul_f64 v[157:158], v[133:134], s[54:55]
	v_add_f64 v[163:164], v[84:85], v[185:186]
	v_add_f64 v[161:162], v[84:85], v[161:162]
	;; [unrolled: 1-line block ×6, first 2 shown]
	v_fma_f64 v[159:160], v[139:140], s[18:19], -v[157:158]
	v_fma_f64 v[157:158], v[139:140], s[18:19], v[157:158]
	v_add_f64 v[4:5], v[159:160], v[4:5]
	v_add_f64 v[6:7], v[157:158], v[6:7]
	v_mul_f64 v[157:158], v[131:132], s[54:55]
	v_fma_f64 v[159:160], v[137:138], s[18:19], -v[157:158]
	v_fma_f64 v[157:158], v[137:138], s[18:19], v[157:158]
	v_add_f64 v[159:160], v[159:160], v[163:164]
	v_mul_f64 v[163:164], v[135:136], s[22:23]
	v_add_f64 v[157:158], v[157:158], v[161:162]
	v_fma_f64 v[193:194], v[153:154], s[20:21], -v[163:164]
	v_fma_f64 v[163:164], v[153:154], s[20:21], v[163:164]
	v_add_f64 v[4:5], v[193:194], v[4:5]
	v_add_f64 v[6:7], v[163:164], v[6:7]
	v_mul_f64 v[163:164], v[114:115], s[22:23]
	v_fma_f64 v[193:194], v[151:152], s[20:21], -v[163:164]
	v_fma_f64 v[163:164], v[151:152], s[20:21], v[163:164]
	v_add_f64 v[159:160], v[193:194], v[159:160]
	v_mul_f64 v[193:194], v[143:144], s[52:53]
	v_add_f64 v[157:158], v[163:164], v[157:158]
	v_mul_f64 v[163:164], v[133:134], s[2:3]
	v_fma_f64 v[195:196], v[147:148], s[28:29], -v[193:194]
	v_fma_f64 v[193:194], v[147:148], s[28:29], v[193:194]
	v_add_f64 v[4:5], v[195:196], v[4:5]
	v_add_f64 v[6:7], v[193:194], v[6:7]
	v_mul_f64 v[193:194], v[141:142], s[52:53]
	v_fma_f64 v[195:196], v[122:123], s[28:29], -v[193:194]
	v_fma_f64 v[193:194], v[122:123], s[28:29], v[193:194]
	v_add_f64 v[159:160], v[195:196], v[159:160]
	v_mul_f64 v[195:196], v[129:130], s[2:3]
	v_add_f64 v[157:158], v[193:194], v[157:158]
	v_fma_f64 v[197:198], v[112:113], s[0:1], -v[195:196]
	v_fma_f64 v[195:196], v[112:113], s[0:1], v[195:196]
	v_add_f64 v[4:5], v[197:198], v[4:5]
	v_add_f64 v[6:7], v[195:196], v[6:7]
	v_mul_f64 v[195:196], v[155:156], s[2:3]
	v_fma_f64 v[197:198], v[149:150], s[0:1], -v[195:196]
	v_fma_f64 v[195:196], v[149:150], s[0:1], v[195:196]
	v_add_f64 v[159:160], v[197:198], v[159:160]
	v_mul_f64 v[197:198], v[126:127], s[42:43]
	v_add_f64 v[157:158], v[195:196], v[157:158]
	v_fma_f64 v[161:162], v[120:121], s[34:35], v[197:198]
	v_fma_f64 v[199:200], v[120:121], s[34:35], -v[197:198]
	v_add_f64 v[6:7], v[161:162], v[6:7]
	v_mul_f64 v[161:162], v[145:146], s[42:43]
	v_add_f64 v[4:5], v[199:200], v[4:5]
	s_mov_b32 s43, 0x3fc7851a
	s_mov_b32 s42, s2
	v_fma_f64 v[197:198], v[108:109], s[34:35], -v[161:162]
	v_fma_f64 v[161:162], v[108:109], s[34:35], v[161:162]
	v_add_f64 v[159:160], v[197:198], v[159:160]
	v_mul_f64 v[197:198], v[124:125], s[44:45]
	v_add_f64 v[157:158], v[161:162], v[157:158]
	v_mul_f64 v[161:162], v[131:132], s[26:27]
	v_fma_f64 v[199:200], v[106:107], s[10:11], -v[197:198]
	v_fma_f64 v[197:198], v[106:107], s[10:11], v[197:198]
	v_add_f64 v[4:5], v[199:200], v[4:5]
	v_fma_f64 v[199:200], v[139:140], s[0:1], v[163:164]
	v_fma_f64 v[163:164], v[139:140], s[0:1], -v[163:164]
	v_add_f64 v[197:198], v[197:198], v[6:7]
	v_mul_f64 v[6:7], v[110:111], s[44:45]
	v_add_f64 v[8:9], v[199:200], v[8:9]
	v_add_f64 v[10:11], v[163:164], v[10:11]
	v_mul_f64 v[163:164], v[135:136], s[48:49]
	v_fma_f64 v[199:200], v[104:105], s[10:11], -v[6:7]
	v_fma_f64 v[6:7], v[104:105], s[10:11], v[6:7]
	v_fma_f64 v[193:194], v[153:154], s[36:37], v[163:164]
	v_fma_f64 v[163:164], v[153:154], s[36:37], -v[163:164]
	v_add_f64 v[159:160], v[199:200], v[159:160]
	v_mul_f64 v[199:200], v[131:132], s[2:3]
	v_add_f64 v[157:158], v[6:7], v[157:158]
	v_mul_f64 v[6:7], v[124:125], s[46:47]
	v_add_f64 v[8:9], v[193:194], v[8:9]
	v_add_f64 v[10:11], v[163:164], v[10:11]
	v_mul_f64 v[163:164], v[143:144], s[8:9]
	v_fma_f64 v[201:202], v[137:138], s[0:1], -v[199:200]
	v_mul_f64 v[193:194], v[114:115], s[48:49]
	v_fma_f64 v[195:196], v[147:148], s[10:11], v[163:164]
	v_add_f64 v[185:186], v[201:202], v[185:186]
	v_fma_f64 v[201:202], v[151:152], s[36:37], -v[193:194]
	v_fma_f64 v[193:194], v[151:152], s[36:37], v[193:194]
	v_fma_f64 v[163:164], v[147:148], s[10:11], -v[163:164]
	v_add_f64 v[8:9], v[195:196], v[8:9]
	v_fma_f64 v[195:196], v[137:138], s[0:1], v[199:200]
	v_add_f64 v[185:186], v[201:202], v[185:186]
	v_add_f64 v[10:11], v[163:164], v[10:11]
	v_mul_f64 v[163:164], v[129:130], s[52:53]
	v_add_f64 v[179:180], v[195:196], v[179:180]
	v_mul_f64 v[195:196], v[133:134], s[26:27]
	v_add_f64 v[179:180], v[193:194], v[179:180]
	v_fma_f64 v[199:200], v[139:140], s[24:25], v[195:196]
	v_fma_f64 v[195:196], v[139:140], s[24:25], -v[195:196]
	v_mul_f64 v[193:194], v[135:136], s[42:43]
	v_add_f64 v[173:174], v[199:200], v[173:174]
	v_mul_f64 v[199:200], v[141:142], s[8:9]
	v_add_f64 v[20:21], v[195:196], v[20:21]
	v_fma_f64 v[195:196], v[153:154], s[0:1], v[193:194]
	v_fma_f64 v[193:194], v[153:154], s[0:1], -v[193:194]
	v_fma_f64 v[201:202], v[122:123], s[10:11], -v[199:200]
	v_add_f64 v[173:174], v[195:196], v[173:174]
	v_mul_f64 v[195:196], v[155:156], s[52:53]
	v_add_f64 v[20:21], v[193:194], v[20:21]
	v_fma_f64 v[193:194], v[122:123], s[10:11], v[199:200]
	v_add_f64 v[185:186], v[201:202], v[185:186]
	v_fma_f64 v[201:202], v[137:138], s[24:25], -v[161:162]
	v_fma_f64 v[161:162], v[137:138], s[24:25], v[161:162]
	v_add_f64 v[179:180], v[193:194], v[179:180]
	v_mul_f64 v[193:194], v[143:144], s[48:49]
	v_add_f64 v[187:188], v[201:202], v[187:188]
	v_fma_f64 v[201:202], v[112:113], s[28:29], v[163:164]
	v_fma_f64 v[163:164], v[112:113], s[28:29], -v[163:164]
	v_add_f64 v[161:162], v[161:162], v[181:182]
	v_mul_f64 v[181:182], v[141:142], s[48:49]
	v_fma_f64 v[199:200], v[147:148], s[36:37], v[193:194]
	v_add_f64 v[8:9], v[201:202], v[8:9]
	v_fma_f64 v[201:202], v[149:150], s[28:29], -v[195:196]
	v_add_f64 v[10:11], v[163:164], v[10:11]
	v_mul_f64 v[163:164], v[126:127], s[16:17]
	v_add_f64 v[173:174], v[199:200], v[173:174]
	v_mul_f64 v[199:200], v[145:146], s[16:17]
	;; [unrolled: 2-line block ×3, first 2 shown]
	v_fma_f64 v[203:204], v[151:152], s[0:1], -v[201:202]
	v_add_f64 v[187:188], v[203:204], v[187:188]
	v_fma_f64 v[203:204], v[120:121], s[18:19], v[163:164]
	v_fma_f64 v[163:164], v[120:121], s[18:19], -v[163:164]
	v_add_f64 v[8:9], v[203:204], v[8:9]
	v_add_f64 v[10:11], v[163:164], v[10:11]
	v_fma_f64 v[163:164], v[106:107], s[24:25], v[6:7]
	v_fma_f64 v[6:7], v[106:107], s[24:25], -v[6:7]
	v_fma_f64 v[203:204], v[108:109], s[18:19], -v[199:200]
	v_add_f64 v[163:164], v[163:164], v[8:9]
	v_fma_f64 v[8:9], v[147:148], s[36:37], -v[193:194]
	v_add_f64 v[6:7], v[6:7], v[10:11]
	v_add_f64 v[185:186], v[203:204], v[185:186]
	v_fma_f64 v[203:204], v[122:123], s[36:37], -v[181:182]
	v_add_f64 v[8:9], v[8:9], v[20:21]
	v_fma_f64 v[20:21], v[149:150], s[28:29], v[195:196]
	v_add_f64 v[187:188], v[203:204], v[187:188]
	v_add_f64 v[20:21], v[20:21], v[179:180]
	v_mul_f64 v[179:180], v[129:130], s[22:23]
	v_fma_f64 v[193:194], v[112:113], s[20:21], v[179:180]
	v_fma_f64 v[10:11], v[112:113], s[20:21], -v[179:180]
	v_add_f64 v[173:174], v[193:194], v[173:174]
	v_mul_f64 v[193:194], v[110:111], s[46:47]
	v_add_f64 v[8:9], v[10:11], v[8:9]
	v_fma_f64 v[10:11], v[108:109], s[18:19], v[199:200]
	v_fma_f64 v[195:196], v[104:105], s[24:25], -v[193:194]
	v_add_f64 v[10:11], v[10:11], v[20:21]
	v_mul_f64 v[20:21], v[126:127], s[44:45]
	v_add_f64 v[185:186], v[195:196], v[185:186]
	v_fma_f64 v[195:196], v[151:152], s[0:1], v[201:202]
	v_fma_f64 v[179:180], v[120:121], s[10:11], v[20:21]
	v_fma_f64 v[20:21], v[120:121], s[10:11], -v[20:21]
	v_add_f64 v[161:162], v[195:196], v[161:162]
	v_mul_f64 v[195:196], v[155:156], s[22:23]
	v_add_f64 v[173:174], v[179:180], v[173:174]
	v_fma_f64 v[179:180], v[122:123], s[36:37], v[181:182]
	v_add_f64 v[8:9], v[20:21], v[8:9]
	v_fma_f64 v[201:202], v[149:150], s[20:21], -v[195:196]
	v_fma_f64 v[20:21], v[149:150], s[20:21], v[195:196]
	v_add_f64 v[161:162], v[179:180], v[161:162]
	v_mul_f64 v[179:180], v[145:146], s[44:45]
	v_add_f64 v[187:188], v[201:202], v[187:188]
	v_add_f64 v[20:21], v[20:21], v[161:162]
	v_fma_f64 v[181:182], v[108:109], s[10:11], -v[179:180]
	v_mul_f64 v[161:162], v[133:134], s[40:41]
	v_mul_f64 v[133:134], v[133:134], s[50:51]
	v_add_f64 v[181:182], v[181:182], v[187:188]
	v_fma_f64 v[187:188], v[139:140], s[34:35], -v[161:162]
	v_fma_f64 v[161:162], v[139:140], s[34:35], v[161:162]
	v_add_f64 v[175:176], v[187:188], v[175:176]
	v_fma_f64 v[187:188], v[139:140], s[20:21], -v[133:134]
	v_fma_f64 v[133:134], v[139:140], s[20:21], v[133:134]
	v_mul_f64 v[139:140], v[131:132], s[40:41]
	v_add_f64 v[22:23], v[161:162], v[22:23]
	v_mul_f64 v[161:162], v[135:136], s[26:27]
	v_mul_f64 v[135:136], v[135:136], s[52:53]
	;; [unrolled: 1-line block ×3, first 2 shown]
	v_add_f64 v[86:87], v[133:134], v[86:87]
	v_fma_f64 v[195:196], v[137:138], s[34:35], v[139:140]
	v_fma_f64 v[139:140], v[137:138], s[34:35], -v[139:140]
	v_mul_f64 v[133:134], v[114:115], s[26:27]
	v_mul_f64 v[114:115], v[114:115], s[52:53]
	v_fma_f64 v[199:200], v[137:138], s[20:21], v[131:132]
	v_fma_f64 v[131:132], v[137:138], s[20:21], -v[131:132]
	v_add_f64 v[137:138], v[187:188], v[177:178]
	v_add_f64 v[187:188], v[195:196], v[191:192]
	;; [unrolled: 1-line block ×3, first 2 shown]
	v_fma_f64 v[183:184], v[153:154], s[24:25], -v[161:162]
	v_fma_f64 v[161:162], v[153:154], s[24:25], v[161:162]
	v_add_f64 v[177:178], v[199:200], v[189:190]
	v_fma_f64 v[189:190], v[151:152], s[28:29], v[114:115]
	v_fma_f64 v[114:115], v[151:152], s[28:29], -v[114:115]
	v_add_f64 v[84:85], v[131:132], v[84:85]
	v_add_f64 v[175:176], v[183:184], v[175:176]
	v_fma_f64 v[183:184], v[153:154], s[28:29], -v[135:136]
	v_fma_f64 v[135:136], v[153:154], s[28:29], v[135:136]
	v_fma_f64 v[153:154], v[151:152], s[24:25], v[133:134]
	v_fma_f64 v[133:134], v[151:152], s[24:25], -v[133:134]
	v_add_f64 v[22:23], v[161:162], v[22:23]
	v_add_f64 v[84:85], v[114:115], v[84:85]
	;; [unrolled: 1-line block ×4, first 2 shown]
	v_mul_f64 v[135:136], v[141:142], s[2:3]
	v_add_f64 v[133:134], v[133:134], v[139:140]
	v_mul_f64 v[139:140], v[143:144], s[2:3]
	v_mul_f64 v[143:144], v[143:144], s[40:41]
	v_add_f64 v[151:152], v[153:154], v[187:188]
	v_mul_f64 v[141:142], v[141:142], s[40:41]
	v_add_f64 v[137:138], v[189:190], v[177:178]
	v_fma_f64 v[153:154], v[147:148], s[0:1], -v[139:140]
	v_fma_f64 v[161:162], v[147:148], s[34:35], -v[143:144]
	v_fma_f64 v[139:140], v[147:148], s[0:1], v[139:140]
	v_fma_f64 v[143:144], v[147:148], s[34:35], v[143:144]
	;; [unrolled: 1-line block ×3, first 2 shown]
	v_fma_f64 v[135:136], v[122:123], s[0:1], -v[135:136]
	v_add_f64 v[153:154], v[153:154], v[175:176]
	v_add_f64 v[114:115], v[161:162], v[131:132]
	v_mul_f64 v[131:132], v[129:130], s[54:55]
	v_fma_f64 v[175:176], v[122:123], s[34:35], v[141:142]
	v_fma_f64 v[122:123], v[122:123], s[34:35], -v[141:142]
	v_mul_f64 v[129:130], v[129:130], s[38:39]
	v_add_f64 v[147:148], v[147:148], v[151:152]
	v_mul_f64 v[151:152], v[155:156], s[38:39]
	v_mul_f64 v[155:156], v[155:156], s[54:55]
	v_add_f64 v[22:23], v[139:140], v[22:23]
	v_mul_f64 v[139:140], v[126:127], s[48:49]
	v_add_f64 v[133:134], v[135:136], v[133:134]
	v_add_f64 v[86:87], v[143:144], v[86:87]
	v_mul_f64 v[126:127], v[126:127], s[26:27]
	v_fma_f64 v[141:142], v[112:113], s[18:19], -v[131:132]
	v_add_f64 v[137:138], v[175:176], v[137:138]
	v_fma_f64 v[131:132], v[112:113], s[18:19], v[131:132]
	v_fma_f64 v[135:136], v[112:113], s[36:37], -v[129:130]
	v_fma_f64 v[112:113], v[112:113], s[36:37], v[129:130]
	v_fma_f64 v[129:130], v[149:150], s[36:37], v[151:152]
	;; [unrolled: 1-line block ×3, first 2 shown]
	v_add_f64 v[84:85], v[122:123], v[84:85]
	v_mul_f64 v[122:123], v[124:125], s[40:41]
	v_mul_f64 v[175:176], v[102:103], s[8:9]
	v_add_f64 v[141:142], v[141:142], v[153:154]
	v_fma_f64 v[153:154], v[149:150], s[18:19], -v[155:156]
	v_fma_f64 v[149:150], v[149:150], s[36:37], -v[151:152]
	v_fma_f64 v[151:152], v[120:121], s[36:37], -v[139:140]
	v_mul_f64 v[155:156], v[145:146], s[26:27]
	v_mul_f64 v[145:146], v[145:146], s[48:49]
	v_add_f64 v[114:115], v[135:136], v[114:115]
	v_mul_f64 v[135:136], v[124:125], s[30:31]
	v_add_f64 v[129:130], v[129:130], v[137:138]
	v_add_f64 v[137:138], v[143:144], v[147:148]
	;; [unrolled: 1-line block ×3, first 2 shown]
	v_fma_f64 v[139:140], v[120:121], s[36:37], v[139:140]
	v_mul_f64 v[124:125], v[124:125], s[16:17]
	v_add_f64 v[86:87], v[112:113], v[86:87]
	v_mul_f64 v[112:113], v[110:111], s[16:17]
	v_add_f64 v[131:132], v[153:154], v[133:134]
	v_fma_f64 v[133:134], v[120:121], s[24:25], -v[126:127]
	v_add_f64 v[141:142], v[151:152], v[141:142]
	v_fma_f64 v[143:144], v[108:109], s[24:25], v[155:156]
	v_fma_f64 v[147:148], v[108:109], s[36:37], v[145:146]
	;; [unrolled: 1-line block ×4, first 2 shown]
	v_fma_f64 v[126:127], v[108:109], s[36:37], -v[145:146]
	v_mul_f64 v[145:146], v[110:111], s[30:31]
	v_mul_f64 v[110:111], v[110:111], s[40:41]
	v_fma_f64 v[153:154], v[106:107], s[34:35], -v[122:123]
	v_fma_f64 v[161:162], v[106:107], s[28:29], -v[135:136]
	v_add_f64 v[84:85], v[149:150], v[84:85]
	v_fma_f64 v[122:123], v[106:107], s[34:35], v[122:123]
	v_fma_f64 v[135:136], v[106:107], s[28:29], v[135:136]
	v_fma_f64 v[108:109], v[108:109], s[24:25], -v[155:156]
	v_add_f64 v[22:23], v[139:140], v[22:23]
	v_fma_f64 v[139:140], v[104:105], s[18:19], v[112:113]
	v_mul_f64 v[155:156], v[102:103], s[22:23]
	v_add_f64 v[114:115], v[133:134], v[114:115]
	v_add_f64 v[129:130], v[143:144], v[129:130]
	v_fma_f64 v[143:144], v[106:107], s[18:19], -v[124:125]
	v_add_f64 v[20:21], v[151:152], v[20:21]
	v_fma_f64 v[151:152], v[104:105], s[24:25], v[193:194]
	v_fma_f64 v[106:107], v[106:107], s[18:19], v[124:125]
	v_add_f64 v[86:87], v[120:121], v[86:87]
	v_fma_f64 v[149:150], v[104:105], s[34:35], v[110:111]
	v_fma_f64 v[110:111], v[104:105], s[34:35], -v[110:111]
	v_add_f64 v[133:134], v[147:148], v[137:138]
	v_mul_f64 v[137:138], v[118:119], s[26:27]
	v_add_f64 v[147:148], v[153:154], v[8:9]
	v_add_f64 v[141:142], v[161:162], v[141:142]
	v_mul_f64 v[124:125], v[118:119], s[22:23]
	v_mul_f64 v[120:121], v[118:119], s[16:17]
	;; [unrolled: 1-line block ×5, first 2 shown]
	v_add_f64 v[126:127], v[126:127], v[131:132]
	v_fma_f64 v[131:132], v[104:105], s[28:29], v[145:146]
	v_mul_f64 v[8:9], v[102:103], s[26:27]
	v_mul_f64 v[102:103], v[102:103], s[16:17]
	v_fma_f64 v[145:146], v[104:105], s[28:29], -v[145:146]
	v_fma_f64 v[104:105], v[104:105], s[18:19], -v[112:113]
	v_add_f64 v[84:85], v[108:109], v[84:85]
	v_add_f64 v[108:109], v[143:144], v[114:115]
	v_add_f64 v[10:11], v[151:152], v[10:11]
	v_add_f64 v[129:130], v[139:140], v[129:130]
	v_add_f64 v[122:123], v[122:123], v[173:174]
	v_add_f64 v[20:21], v[149:150], v[20:21]
	v_add_f64 v[151:152], v[110:111], v[181:182]
	v_add_f64 v[181:182], v[106:107], v[86:87]
	v_add_f64 v[106:107], v[0:1], v[207:208]
	buffer_load_dword v1, off, s[60:63], 0  ; 4-byte Folded Reload
	v_fma_f64 v[173:174], v[100:101], s[10:11], v[175:176]
	v_fma_f64 v[112:113], v[116:117], s[24:25], -v[137:138]
	v_fma_f64 v[139:140], v[116:117], s[18:19], -v[120:121]
	;; [unrolled: 1-line block ×4, first 2 shown]
	v_fma_f64 v[110:111], v[100:101], s[0:1], v[161:162]
	v_fma_f64 v[114:115], v[116:117], s[24:25], v[137:138]
	v_add_f64 v[131:132], v[131:132], v[133:134]
	v_fma_f64 v[133:134], v[100:101], s[24:25], -v[8:9]
	v_fma_f64 v[177:178], v[100:101], s[18:19], v[102:103]
	v_fma_f64 v[137:138], v[100:101], s[24:25], v[8:9]
	v_fma_f64 v[8:9], v[116:117], s[20:21], -v[124:125]
	v_fma_f64 v[179:180], v[100:101], s[20:21], v[155:156]
	v_fma_f64 v[124:125], v[116:117], s[20:21], v[124:125]
	v_fma_f64 v[155:156], v[100:101], s[20:21], -v[155:156]
	v_add_f64 v[126:127], v[145:146], v[126:127]
	v_fma_f64 v[120:121], v[116:117], s[18:19], v[120:121]
	v_fma_f64 v[145:146], v[116:117], s[10:11], v[153:154]
	;; [unrolled: 1-line block ×3, first 2 shown]
	v_fma_f64 v[116:117], v[100:101], s[18:19], -v[102:103]
	v_add_f64 v[135:136], v[135:136], v[22:23]
	v_fma_f64 v[175:176], v[100:101], s[10:11], -v[175:176]
	v_fma_f64 v[161:162], v[100:101], s[0:1], -v[161:162]
	v_add_f64 v[183:184], v[104:105], v[84:85]
	v_add_f64 v[104:105], v[2:3], v[205:206]
	;; [unrolled: 1-line block ×12, first 2 shown]
	v_mul_lo_u16 v0, v255, 17
	v_add_f64 v[110:111], v[114:115], v[197:198]
	v_add_f64 v[108:109], v[133:134], v[159:160]
	;; [unrolled: 1-line block ×4, first 2 shown]
	v_and_b32_e32 v0, 0xffff, v0
	v_add_f64 v[118:119], v[120:121], v[122:123]
	v_add_f64 v[116:117], v[116:117], v[151:152]
	;; [unrolled: 1-line block ×6, first 2 shown]
	s_waitcnt vmcnt(0)
	v_lshl_add_u32 v0, v0, 4, v1
	ds_write_b128 v0, v[104:107]
	ds_write_b128 v0, v[100:103] offset:16
	ds_write_b128 v0, v[84:87] offset:32
	;; [unrolled: 1-line block ×16, first 2 shown]
.LBB0_13:
	s_or_b32 exec_lo, exec_lo, s33
	s_waitcnt lgkmcnt(0)
	s_barrier
	buffer_gl0_inv
	ds_read_b128 v[0:3], v166 offset:2720
	ds_read_b128 v[4:7], v166 offset:3264
	;; [unrolled: 1-line block ×6, first 2 shown]
	ds_read_b128 v[24:27], v166
	ds_read_b128 v[84:87], v166 offset:544
	ds_read_b128 v[88:91], v166 offset:1088
	;; [unrolled: 1-line block ×3, first 2 shown]
	s_waitcnt lgkmcnt(0)
	s_barrier
	buffer_gl0_inv
	s_mov_b32 s8, 0x134454ff
	s_mov_b32 s9, 0xbfee6f0e
	;; [unrolled: 1-line block ×10, first 2 shown]
	v_mul_f64 v[96:97], v[42:43], v[2:3]
	v_mul_f64 v[42:43], v[42:43], v[0:1]
	v_mul_f64 v[98:99], v[46:47], v[6:7]
	v_mul_f64 v[46:47], v[46:47], v[4:5]
	v_mul_f64 v[100:101], v[50:51], v[10:11]
	v_mul_f64 v[50:51], v[50:51], v[8:9]
	v_mul_f64 v[102:103], v[38:39], v[14:15]
	v_mul_f64 v[38:39], v[38:39], v[12:13]
	v_mul_f64 v[104:105], v[34:35], v[18:19]
	v_mul_f64 v[34:35], v[34:35], v[16:17]
	s_mov_b32 s18, 0x9b97f4a8
	s_mov_b32 s19, 0x3fe9e377
	;; [unrolled: 1-line block ×6, first 2 shown]
	v_fma_f64 v[0:1], v[40:41], v[0:1], v[96:97]
	v_fma_f64 v[2:3], v[40:41], v[2:3], -v[42:43]
	v_fma_f64 v[4:5], v[44:45], v[4:5], v[98:99]
	v_fma_f64 v[6:7], v[44:45], v[6:7], -v[46:47]
	;; [unrolled: 2-line block ×5, first 2 shown]
	v_add_f64 v[0:1], v[24:25], -v[0:1]
	v_add_f64 v[2:3], v[26:27], -v[2:3]
	;; [unrolled: 1-line block ×10, first 2 shown]
	v_fma_f64 v[24:25], v[24:25], 2.0, -v[0:1]
	v_fma_f64 v[26:27], v[26:27], 2.0, -v[2:3]
	;; [unrolled: 1-line block ×10, first 2 shown]
	ds_write_b128 v172, v[0:3] offset:272
	ds_write_b128 v172, v[24:27]
	ds_write_b128 v171, v[32:35]
	ds_write_b128 v171, v[4:7] offset:272
	ds_write_b128 v170, v[36:39]
	ds_write_b128 v170, v[8:11] offset:272
	;; [unrolled: 2-line block ×4, first 2 shown]
	s_waitcnt lgkmcnt(0)
	s_barrier
	buffer_gl0_inv
	ds_read_b128 v[0:3], v166 offset:1632
	ds_read_b128 v[4:7], v166 offset:2720
	;; [unrolled: 1-line block ×9, first 2 shown]
	ds_read_b128 v[40:43], v166
	s_waitcnt lgkmcnt(9)
	v_mul_f64 v[44:45], v[54:55], v[0:1]
	s_waitcnt lgkmcnt(8)
	v_mul_f64 v[46:47], v[62:63], v[4:5]
	;; [unrolled: 2-line block ×5, first 2 shown]
	v_mul_f64 v[54:55], v[54:55], v[2:3]
	v_mul_f64 v[62:63], v[62:63], v[6:7]
	;; [unrolled: 1-line block ×4, first 2 shown]
	s_waitcnt lgkmcnt(4)
	v_mul_f64 v[86:87], v[82:83], v[22:23]
	v_mul_f64 v[82:83], v[82:83], v[20:21]
	s_waitcnt lgkmcnt(3)
	v_mul_f64 v[88:89], v[78:79], v[26:27]
	v_mul_f64 v[78:79], v[78:79], v[24:25]
	s_waitcnt lgkmcnt(2)
	v_mul_f64 v[90:91], v[74:75], v[34:35]
	s_waitcnt lgkmcnt(1)
	v_mul_f64 v[92:93], v[70:71], v[36:37]
	v_mul_f64 v[74:75], v[74:75], v[32:33]
	;; [unrolled: 1-line block ×4, first 2 shown]
	v_fma_f64 v[2:3], v[52:53], v[2:3], -v[44:45]
	v_fma_f64 v[6:7], v[60:61], v[6:7], -v[46:47]
	v_fma_f64 v[10:11], v[56:57], v[10:11], -v[48:49]
	v_fma_f64 v[14:15], v[64:65], v[14:15], -v[50:51]
	v_fma_f64 v[18:19], v[28:29], v[18:19], -v[84:85]
	v_fma_f64 v[0:1], v[52:53], v[0:1], v[54:55]
	v_fma_f64 v[4:5], v[60:61], v[4:5], v[62:63]
	v_fma_f64 v[8:9], v[56:57], v[8:9], v[58:59]
	v_fma_f64 v[12:13], v[64:65], v[12:13], v[66:67]
	v_fma_f64 v[20:21], v[80:81], v[20:21], v[86:87]
	v_fma_f64 v[22:23], v[80:81], v[22:23], -v[82:83]
	v_fma_f64 v[24:25], v[76:77], v[24:25], v[88:89]
	v_fma_f64 v[26:27], v[76:77], v[26:27], -v[78:79]
	v_fma_f64 v[32:33], v[72:73], v[32:33], v[90:91]
	v_fma_f64 v[38:39], v[68:69], v[38:39], -v[92:93]
	v_fma_f64 v[34:35], v[72:73], v[34:35], -v[74:75]
	v_fma_f64 v[36:37], v[68:69], v[36:37], v[70:71]
	v_fma_f64 v[16:17], v[28:29], v[16:17], v[30:31]
	v_add_f64 v[84:85], v[2:3], -v[6:7]
	v_add_f64 v[44:45], v[6:7], v[10:11]
	v_add_f64 v[46:47], v[2:3], v[14:15]
	v_add_f64 v[82:83], v[2:3], -v[14:15]
	v_add_f64 v[86:87], v[14:15], -v[10:11]
	;; [unrolled: 1-line block ×3, first 2 shown]
	v_add_f64 v[56:57], v[4:5], v[8:9]
	v_add_f64 v[58:59], v[0:1], v[12:13]
	v_add_f64 v[60:61], v[0:1], -v[12:13]
	v_add_f64 v[62:63], v[4:5], -v[8:9]
	s_waitcnt lgkmcnt(0)
	v_add_f64 v[28:29], v[40:41], v[20:21]
	v_add_f64 v[52:53], v[20:21], -v[24:25]
	v_add_f64 v[30:31], v[24:25], v[32:33]
	v_add_f64 v[80:81], v[22:23], v[38:39]
	;; [unrolled: 1-line block ×3, first 2 shown]
	v_add_f64 v[54:55], v[36:37], -v[32:33]
	v_add_f64 v[64:65], v[20:21], v[36:37]
	v_add_f64 v[88:89], v[6:7], -v[2:3]
	v_add_f64 v[90:91], v[10:11], -v[14:15]
	v_add_f64 v[70:71], v[42:43], v[22:23]
	v_add_f64 v[2:3], v[18:19], v[2:3]
	v_add_f64 v[48:49], v[22:23], -v[38:39]
	v_add_f64 v[50:51], v[26:27], -v[34:35]
	v_fma_f64 v[44:45], v[44:45], -0.5, v[18:19]
	v_fma_f64 v[46:47], v[46:47], -0.5, v[18:19]
	v_add_f64 v[66:67], v[24:25], -v[20:21]
	v_add_f64 v[68:69], v[32:33], -v[36:37]
	;; [unrolled: 1-line block ×3, first 2 shown]
	v_fma_f64 v[56:57], v[56:57], -0.5, v[16:17]
	v_fma_f64 v[58:59], v[58:59], -0.5, v[16:17]
	v_add_f64 v[16:17], v[16:17], v[0:1]
	v_add_f64 v[74:75], v[24:25], -v[32:33]
	v_add_f64 v[100:101], v[0:1], -v[4:5]
	;; [unrolled: 1-line block ×5, first 2 shown]
	v_fma_f64 v[18:19], v[30:31], -0.5, v[40:41]
	v_add_f64 v[24:25], v[28:29], v[24:25]
	v_fma_f64 v[28:29], v[64:65], -0.5, v[40:41]
	v_add_f64 v[30:31], v[52:53], v[54:55]
	v_fma_f64 v[40:41], v[72:73], -0.5, v[42:43]
	v_fma_f64 v[42:43], v[80:81], -0.5, v[42:43]
	v_add_f64 v[52:53], v[84:85], v[86:87]
	v_add_f64 v[54:55], v[88:89], v[90:91]
	v_add_f64 v[76:77], v[22:23], -v[26:27]
	v_fma_f64 v[96:97], v[60:61], s[2:3], v[44:45]
	v_fma_f64 v[98:99], v[62:63], s[8:9], v[46:47]
	;; [unrolled: 1-line block ×4, first 2 shown]
	v_add_f64 v[22:23], v[26:27], -v[22:23]
	v_fma_f64 v[64:65], v[82:83], s[8:9], v[56:57]
	v_fma_f64 v[72:73], v[92:93], s[2:3], v[58:59]
	;; [unrolled: 1-line block ×4, first 2 shown]
	v_add_f64 v[26:27], v[70:71], v[26:27]
	v_add_f64 v[4:5], v[16:17], v[4:5]
	;; [unrolled: 1-line block ×3, first 2 shown]
	v_add_f64 v[78:79], v[38:39], -v[34:35]
	v_add_f64 v[16:17], v[100:101], v[102:103]
	v_add_f64 v[0:1], v[0:1], v[104:105]
	v_fma_f64 v[6:7], v[48:49], s[8:9], v[18:19]
	v_fma_f64 v[18:19], v[48:49], s[2:3], v[18:19]
	v_add_f64 v[94:95], v[34:35], -v[38:39]
	v_add_f64 v[24:25], v[24:25], v[32:33]
	v_fma_f64 v[80:81], v[62:63], s[16:17], v[96:97]
	v_fma_f64 v[84:85], v[60:61], s[16:17], v[98:99]
	;; [unrolled: 1-line block ×4, first 2 shown]
	v_add_f64 v[60:61], v[66:67], v[68:69]
	v_fma_f64 v[62:63], v[50:51], s[2:3], v[28:29]
	v_fma_f64 v[28:29], v[50:51], s[8:9], v[28:29]
	;; [unrolled: 1-line block ×10, first 2 shown]
	v_add_f64 v[26:27], v[26:27], v[34:35]
	v_add_f64 v[4:5], v[4:5], v[8:9]
	;; [unrolled: 1-line block ×3, first 2 shown]
	v_fma_f64 v[6:7], v[50:51], s[10:11], v[6:7]
	v_fma_f64 v[8:9], v[50:51], s[16:17], v[18:19]
	v_add_f64 v[22:23], v[22:23], v[94:95]
	v_add_f64 v[24:25], v[24:25], v[36:37]
	v_fma_f64 v[72:73], v[52:53], s[0:1], v[80:81]
	v_fma_f64 v[80:81], v[54:55], s[0:1], v[84:85]
	v_fma_f64 v[46:47], v[54:55], s[0:1], v[46:47]
	v_fma_f64 v[44:45], v[52:53], s[0:1], v[44:45]
	v_add_f64 v[52:53], v[76:77], v[78:79]
	v_fma_f64 v[10:11], v[48:49], s[10:11], v[62:63]
	v_fma_f64 v[18:19], v[48:49], s[16:17], v[28:29]
	;; [unrolled: 1-line block ×10, first 2 shown]
	v_add_f64 v[26:27], v[26:27], v[38:39]
	v_add_f64 v[4:5], v[4:5], v[12:13]
	;; [unrolled: 1-line block ×3, first 2 shown]
	v_fma_f64 v[36:37], v[30:31], s[0:1], v[6:7]
	v_fma_f64 v[30:31], v[30:31], s[0:1], v[8:9]
	v_mul_f64 v[48:49], v[72:73], s[10:11]
	v_mul_f64 v[58:59], v[72:73], s[18:19]
	;; [unrolled: 1-line block ×8, first 2 shown]
	v_fma_f64 v[64:65], v[52:53], s[0:1], v[28:29]
	v_fma_f64 v[38:39], v[60:61], s[0:1], v[10:11]
	;; [unrolled: 1-line block ×6, first 2 shown]
	v_add_f64 v[2:3], v[26:27], v[12:13]
	v_add_f64 v[6:7], v[26:27], -v[12:13]
	v_fma_f64 v[28:29], v[40:41], s[18:19], v[48:49]
	v_fma_f64 v[40:41], v[40:41], s[16:17], v[58:59]
	;; [unrolled: 1-line block ×8, first 2 shown]
	v_add_f64 v[0:1], v[24:25], v[4:5]
	v_add_f64 v[4:5], v[24:25], -v[4:5]
	v_add_f64 v[8:9], v[36:37], v[28:29]
	v_add_f64 v[10:11], v[64:65], v[40:41]
	;; [unrolled: 1-line block ×8, first 2 shown]
	v_add_f64 v[24:25], v[36:37], -v[28:29]
	v_add_f64 v[26:27], v[64:65], -v[40:41]
	;; [unrolled: 1-line block ×8, first 2 shown]
	ds_write_b128 v167, v[0:3]
	ds_write_b128 v165, v[4:7] offset:2720
	ds_write_b128 v165, v[8:11] offset:544
	;; [unrolled: 1-line block ×9, first 2 shown]
	s_waitcnt lgkmcnt(0)
	s_barrier
	buffer_gl0_inv
	s_and_b32 exec_lo, exec_lo, vcc_lo
	s_cbranch_execz .LBB0_15
; %bb.14:
	v_lshlrev_b32_e32 v18, 4, v255
	v_mad_u64_u32 v[14:15], null, s6, v128, 0
	s_mov_b32 s0, 0x18181818
	s_mov_b32 s1, 0x3f681818
	global_load_dwordx4 v[0:3], v18, s[12:13]
	ds_read_b128 v[4:7], v167
	ds_read_b128 v[8:11], v165 offset:320
	s_mul_i32 s2, s5, 0x140
	s_mul_hi_u32 s6, s4, 0x140
	s_mul_i32 s3, s4, 0x140
	s_add_i32 s2, s6, s2
	v_add_co_u32 v20, s6, s12, v18
	v_add_co_ci_u32_e64 v21, null, s13, 0, s6
	s_waitcnt vmcnt(0) lgkmcnt(1)
	v_mul_f64 v[12:13], v[6:7], v[2:3]
	v_mul_f64 v[2:3], v[4:5], v[2:3]
	v_fma_f64 v[4:5], v[4:5], v[0:1], v[12:13]
	v_fma_f64 v[0:1], v[0:1], v[6:7], -v[2:3]
	v_mad_u64_u32 v[6:7], null, s4, v255, 0
	v_mov_b32_e32 v2, v15
	v_mov_b32_e32 v3, v7
	v_mad_u64_u32 v[12:13], null, s7, v128, v[2:3]
	v_mad_u64_u32 v[16:17], null, s5, v255, v[3:4]
	v_mov_b32_e32 v15, v12
	v_mul_f64 v[2:3], v[4:5], s[0:1]
	v_mul_f64 v[4:5], v[0:1], s[0:1]
	v_lshlrev_b64 v[0:1], 4, v[14:15]
	v_mov_b32_e32 v7, v16
	v_add_co_u32 v0, vcc_lo, s14, v0
	v_lshlrev_b64 v[6:7], 4, v[6:7]
	v_add_co_ci_u32_e32 v1, vcc_lo, s15, v1, vcc_lo
	v_add_co_u32 v6, vcc_lo, v0, v6
	v_add_co_ci_u32_e32 v7, vcc_lo, v1, v7, vcc_lo
	v_add_co_u32 v14, vcc_lo, v6, s3
	global_store_dwordx4 v[6:7], v[2:5], off
	global_load_dwordx4 v[2:5], v18, s[12:13] offset:320
	v_add_co_ci_u32_e32 v15, vcc_lo, s2, v7, vcc_lo
	s_waitcnt vmcnt(0) lgkmcnt(0)
	v_mul_f64 v[12:13], v[10:11], v[4:5]
	v_mul_f64 v[4:5], v[8:9], v[4:5]
	v_fma_f64 v[8:9], v[8:9], v[2:3], v[12:13]
	v_fma_f64 v[4:5], v[2:3], v[10:11], -v[4:5]
	v_mul_f64 v[2:3], v[8:9], s[0:1]
	v_mul_f64 v[4:5], v[4:5], s[0:1]
	global_store_dwordx4 v[14:15], v[2:5], off
	global_load_dwordx4 v[2:5], v18, s[12:13] offset:640
	ds_read_b128 v[6:9], v165 offset:640
	ds_read_b128 v[10:13], v165 offset:960
	s_waitcnt vmcnt(0) lgkmcnt(1)
	v_mul_f64 v[16:17], v[8:9], v[4:5]
	v_mul_f64 v[4:5], v[6:7], v[4:5]
	v_fma_f64 v[6:7], v[6:7], v[2:3], v[16:17]
	v_fma_f64 v[4:5], v[2:3], v[8:9], -v[4:5]
	v_mul_f64 v[2:3], v[6:7], s[0:1]
	v_mul_f64 v[4:5], v[4:5], s[0:1]
	v_add_co_u32 v6, vcc_lo, v14, s3
	v_add_co_ci_u32_e32 v7, vcc_lo, s2, v15, vcc_lo
	v_add_co_u32 v14, vcc_lo, v6, s3
	v_add_co_ci_u32_e32 v15, vcc_lo, s2, v7, vcc_lo
	global_store_dwordx4 v[6:7], v[2:5], off
	global_load_dwordx4 v[2:5], v18, s[12:13] offset:960
	s_waitcnt vmcnt(0) lgkmcnt(0)
	v_mul_f64 v[8:9], v[12:13], v[4:5]
	v_mul_f64 v[4:5], v[10:11], v[4:5]
	v_fma_f64 v[8:9], v[10:11], v[2:3], v[8:9]
	v_fma_f64 v[4:5], v[2:3], v[12:13], -v[4:5]
	v_mul_f64 v[2:3], v[8:9], s[0:1]
	v_mul_f64 v[4:5], v[4:5], s[0:1]
	global_store_dwordx4 v[14:15], v[2:5], off
	global_load_dwordx4 v[2:5], v18, s[12:13] offset:1280
	ds_read_b128 v[6:9], v165 offset:1280
	ds_read_b128 v[10:13], v165 offset:1600
	s_waitcnt vmcnt(0) lgkmcnt(1)
	v_mul_f64 v[16:17], v[8:9], v[4:5]
	v_mul_f64 v[4:5], v[6:7], v[4:5]
	v_fma_f64 v[6:7], v[6:7], v[2:3], v[16:17]
	v_fma_f64 v[4:5], v[2:3], v[8:9], -v[4:5]
	v_mul_f64 v[2:3], v[6:7], s[0:1]
	v_mul_f64 v[4:5], v[4:5], s[0:1]
	v_add_co_u32 v6, vcc_lo, v14, s3
	v_add_co_ci_u32_e32 v7, vcc_lo, s2, v15, vcc_lo
	v_add_co_u32 v14, vcc_lo, v6, s3
	v_add_co_ci_u32_e32 v15, vcc_lo, s2, v7, vcc_lo
	global_store_dwordx4 v[6:7], v[2:5], off
	global_load_dwordx4 v[2:5], v18, s[12:13] offset:1600
	s_waitcnt vmcnt(0) lgkmcnt(0)
	v_mul_f64 v[8:9], v[12:13], v[4:5]
	v_mul_f64 v[4:5], v[10:11], v[4:5]
	v_fma_f64 v[8:9], v[10:11], v[2:3], v[8:9]
	v_fma_f64 v[4:5], v[2:3], v[12:13], -v[4:5]
	v_mul_f64 v[2:3], v[8:9], s[0:1]
	v_mul_f64 v[4:5], v[4:5], s[0:1]
	global_store_dwordx4 v[14:15], v[2:5], off
	global_load_dwordx4 v[2:5], v18, s[12:13] offset:1920
	ds_read_b128 v[6:9], v165 offset:1920
	ds_read_b128 v[10:13], v165 offset:2240
	buffer_load_dword v22, off, s[60:63], 0 offset:104 ; 4-byte Folded Reload
	s_waitcnt vmcnt(1) lgkmcnt(1)
	v_mul_f64 v[16:17], v[8:9], v[4:5]
	v_mul_f64 v[4:5], v[6:7], v[4:5]
	v_fma_f64 v[6:7], v[6:7], v[2:3], v[16:17]
	v_fma_f64 v[4:5], v[2:3], v[8:9], -v[4:5]
	v_mul_f64 v[2:3], v[6:7], s[0:1]
	v_mul_f64 v[4:5], v[4:5], s[0:1]
	v_add_co_u32 v6, vcc_lo, v14, s3
	v_add_co_ci_u32_e32 v7, vcc_lo, s2, v15, vcc_lo
	v_add_co_u32 v14, vcc_lo, 0x800, v20
	v_add_co_ci_u32_e32 v15, vcc_lo, 0, v21, vcc_lo
	;; [unrolled: 2-line block ×3, first 2 shown]
	global_store_dwordx4 v[6:7], v[2:5], off
	global_load_dwordx4 v[2:5], v[14:15], off offset:192
	s_waitcnt vmcnt(1)
	v_lshlrev_b32_e32 v6, 4, v22
	s_waitcnt vmcnt(0) lgkmcnt(0)
	v_mul_f64 v[8:9], v[12:13], v[4:5]
	v_mul_f64 v[4:5], v[10:11], v[4:5]
	v_fma_f64 v[8:9], v[10:11], v[2:3], v[8:9]
	v_fma_f64 v[4:5], v[2:3], v[12:13], -v[4:5]
	v_mul_f64 v[2:3], v[8:9], s[0:1]
	v_mul_f64 v[4:5], v[4:5], s[0:1]
	global_store_dwordx4 v[16:17], v[2:5], off
	global_load_dwordx4 v[2:5], v6, s[12:13]
	ds_read_b128 v[6:9], v165 offset:2560
	ds_read_b128 v[10:13], v165 offset:2880
	v_mad_u64_u32 v[16:17], null, 0x280, s4, v[16:17]
	s_waitcnt vmcnt(0) lgkmcnt(1)
	v_mul_f64 v[18:19], v[8:9], v[4:5]
	v_mul_f64 v[4:5], v[6:7], v[4:5]
	v_fma_f64 v[6:7], v[6:7], v[2:3], v[18:19]
	v_fma_f64 v[4:5], v[2:3], v[8:9], -v[4:5]
	v_mad_u64_u32 v[8:9], null, s4, v22, 0
	v_mov_b32_e32 v2, v9
	v_mad_u64_u32 v[18:19], null, s5, v22, v[2:3]
	v_mul_f64 v[2:3], v[6:7], s[0:1]
	v_mul_f64 v[4:5], v[4:5], s[0:1]
	v_mov_b32_e32 v9, v18
	v_lshlrev_b64 v[6:7], 4, v[8:9]
	v_add_co_u32 v6, vcc_lo, v0, v6
	v_add_co_ci_u32_e32 v7, vcc_lo, v1, v7, vcc_lo
	global_store_dwordx4 v[6:7], v[2:5], off
	global_load_dwordx4 v[2:5], v[14:15], off offset:832
	s_waitcnt vmcnt(0) lgkmcnt(0)
	v_mul_f64 v[6:7], v[12:13], v[4:5]
	v_mul_f64 v[4:5], v[10:11], v[4:5]
	v_fma_f64 v[6:7], v[10:11], v[2:3], v[6:7]
	v_fma_f64 v[4:5], v[2:3], v[12:13], -v[4:5]
	v_mul_f64 v[2:3], v[6:7], s[0:1]
	v_mul_f64 v[4:5], v[4:5], s[0:1]
	v_mov_b32_e32 v6, v17
	v_mad_u64_u32 v[6:7], null, 0x280, s5, v[6:7]
	v_mov_b32_e32 v17, v6
	global_store_dwordx4 v[16:17], v[2:5], off
	global_load_dwordx4 v[2:5], v[14:15], off offset:1152
	ds_read_b128 v[6:9], v165 offset:3200
	ds_read_b128 v[10:13], v165 offset:3520
	s_waitcnt vmcnt(0) lgkmcnt(1)
	v_mul_f64 v[18:19], v[8:9], v[4:5]
	v_mul_f64 v[4:5], v[6:7], v[4:5]
	v_fma_f64 v[6:7], v[6:7], v[2:3], v[18:19]
	v_fma_f64 v[4:5], v[2:3], v[8:9], -v[4:5]
	v_mul_f64 v[2:3], v[6:7], s[0:1]
	v_mul_f64 v[4:5], v[4:5], s[0:1]
	v_add_co_u32 v6, vcc_lo, v16, s3
	v_add_co_ci_u32_e32 v7, vcc_lo, s2, v17, vcc_lo
	v_add_co_u32 v16, vcc_lo, v6, s3
	v_add_co_ci_u32_e32 v17, vcc_lo, s2, v7, vcc_lo
	global_store_dwordx4 v[6:7], v[2:5], off
	global_load_dwordx4 v[2:5], v[14:15], off offset:1472
	s_waitcnt vmcnt(0) lgkmcnt(0)
	v_mul_f64 v[8:9], v[12:13], v[4:5]
	v_mul_f64 v[4:5], v[10:11], v[4:5]
	v_fma_f64 v[8:9], v[10:11], v[2:3], v[8:9]
	v_fma_f64 v[4:5], v[2:3], v[12:13], -v[4:5]
	v_mul_f64 v[2:3], v[8:9], s[0:1]
	v_mul_f64 v[4:5], v[4:5], s[0:1]
	global_store_dwordx4 v[16:17], v[2:5], off
	global_load_dwordx4 v[2:5], v[14:15], off offset:1792
	ds_read_b128 v[6:9], v165 offset:3840
	ds_read_b128 v[10:13], v165 offset:4160
	s_waitcnt vmcnt(0) lgkmcnt(1)
	v_mul_f64 v[14:15], v[8:9], v[4:5]
	v_mul_f64 v[4:5], v[6:7], v[4:5]
	v_fma_f64 v[6:7], v[6:7], v[2:3], v[14:15]
	v_fma_f64 v[4:5], v[2:3], v[8:9], -v[4:5]
	v_mul_f64 v[2:3], v[6:7], s[0:1]
	v_mul_f64 v[4:5], v[4:5], s[0:1]
	v_add_co_u32 v6, vcc_lo, v16, s3
	v_add_co_ci_u32_e32 v7, vcc_lo, s2, v17, vcc_lo
	v_add_co_u32 v14, vcc_lo, 0x1000, v20
	v_add_co_ci_u32_e32 v15, vcc_lo, 0, v21, vcc_lo
	;; [unrolled: 2-line block ×3, first 2 shown]
	global_store_dwordx4 v[6:7], v[2:5], off
	global_load_dwordx4 v[2:5], v[14:15], off offset:64
	s_waitcnt vmcnt(0) lgkmcnt(0)
	v_mul_f64 v[8:9], v[12:13], v[4:5]
	v_mul_f64 v[4:5], v[10:11], v[4:5]
	v_fma_f64 v[8:9], v[10:11], v[2:3], v[8:9]
	v_fma_f64 v[4:5], v[2:3], v[12:13], -v[4:5]
	v_mul_f64 v[2:3], v[8:9], s[0:1]
	v_mul_f64 v[4:5], v[4:5], s[0:1]
	global_store_dwordx4 v[16:17], v[2:5], off
	global_load_dwordx4 v[2:5], v[14:15], off offset:384
	ds_read_b128 v[6:9], v165 offset:4480
	ds_read_b128 v[10:13], v165 offset:4800
	s_waitcnt vmcnt(0) lgkmcnt(1)
	v_mul_f64 v[18:19], v[8:9], v[4:5]
	v_mul_f64 v[4:5], v[6:7], v[4:5]
	v_fma_f64 v[6:7], v[6:7], v[2:3], v[18:19]
	v_fma_f64 v[4:5], v[2:3], v[8:9], -v[4:5]
	v_mul_f64 v[2:3], v[6:7], s[0:1]
	v_mul_f64 v[4:5], v[4:5], s[0:1]
	v_add_co_u32 v6, vcc_lo, v16, s3
	v_add_co_ci_u32_e32 v7, vcc_lo, s2, v17, vcc_lo
	global_store_dwordx4 v[6:7], v[2:5], off
	global_load_dwordx4 v[2:5], v[14:15], off offset:704
	v_add_co_u32 v6, vcc_lo, v6, s3
	v_add_co_ci_u32_e32 v7, vcc_lo, s2, v7, vcc_lo
	s_waitcnt vmcnt(0) lgkmcnt(0)
	v_mul_f64 v[8:9], v[12:13], v[4:5]
	v_mul_f64 v[4:5], v[10:11], v[4:5]
	v_fma_f64 v[8:9], v[10:11], v[2:3], v[8:9]
	v_fma_f64 v[4:5], v[2:3], v[12:13], -v[4:5]
	buffer_load_dword v12, off, s[60:63], 0 offset:100 ; 4-byte Folded Reload
	v_mul_f64 v[2:3], v[8:9], s[0:1]
	v_mul_f64 v[4:5], v[4:5], s[0:1]
	global_store_dwordx4 v[6:7], v[2:5], off
	s_waitcnt vmcnt(0)
	v_lshlrev_b32_e32 v8, 4, v12
	global_load_dwordx4 v[2:5], v8, s[12:13]
	ds_read_b128 v[6:9], v165 offset:5120
	s_waitcnt vmcnt(0) lgkmcnt(0)
	v_mul_f64 v[10:11], v[8:9], v[4:5]
	v_mul_f64 v[4:5], v[6:7], v[4:5]
	v_fma_f64 v[6:7], v[6:7], v[2:3], v[10:11]
	v_fma_f64 v[4:5], v[2:3], v[8:9], -v[4:5]
	v_mad_u64_u32 v[8:9], null, s4, v12, 0
	v_mov_b32_e32 v2, v9
	v_mad_u64_u32 v[9:10], null, s5, v12, v[2:3]
	v_mul_f64 v[2:3], v[6:7], s[0:1]
	v_mul_f64 v[4:5], v[4:5], s[0:1]
	v_lshlrev_b64 v[6:7], 4, v[8:9]
	v_add_co_u32 v0, vcc_lo, v0, v6
	v_add_co_ci_u32_e32 v1, vcc_lo, v1, v7, vcc_lo
	global_store_dwordx4 v[0:1], v[2:5], off
.LBB0_15:
	s_endpgm
	.section	.rodata,"a",@progbits
	.p2align	6, 0x0
	.amdhsa_kernel bluestein_single_back_len340_dim1_dp_op_CI_CI
		.amdhsa_group_segment_fixed_size 16320
		.amdhsa_private_segment_fixed_size 608
		.amdhsa_kernarg_size 104
		.amdhsa_user_sgpr_count 6
		.amdhsa_user_sgpr_private_segment_buffer 1
		.amdhsa_user_sgpr_dispatch_ptr 0
		.amdhsa_user_sgpr_queue_ptr 0
		.amdhsa_user_sgpr_kernarg_segment_ptr 1
		.amdhsa_user_sgpr_dispatch_id 0
		.amdhsa_user_sgpr_flat_scratch_init 0
		.amdhsa_user_sgpr_private_segment_size 0
		.amdhsa_wavefront_size32 1
		.amdhsa_uses_dynamic_stack 0
		.amdhsa_system_sgpr_private_segment_wavefront_offset 1
		.amdhsa_system_sgpr_workgroup_id_x 1
		.amdhsa_system_sgpr_workgroup_id_y 0
		.amdhsa_system_sgpr_workgroup_id_z 0
		.amdhsa_system_sgpr_workgroup_info 0
		.amdhsa_system_vgpr_workitem_id 0
		.amdhsa_next_free_vgpr 256
		.amdhsa_next_free_sgpr 64
		.amdhsa_reserve_vcc 1
		.amdhsa_reserve_flat_scratch 0
		.amdhsa_float_round_mode_32 0
		.amdhsa_float_round_mode_16_64 0
		.amdhsa_float_denorm_mode_32 3
		.amdhsa_float_denorm_mode_16_64 3
		.amdhsa_dx10_clamp 1
		.amdhsa_ieee_mode 1
		.amdhsa_fp16_overflow 0
		.amdhsa_workgroup_processor_mode 1
		.amdhsa_memory_ordered 1
		.amdhsa_forward_progress 0
		.amdhsa_shared_vgpr_count 0
		.amdhsa_exception_fp_ieee_invalid_op 0
		.amdhsa_exception_fp_denorm_src 0
		.amdhsa_exception_fp_ieee_div_zero 0
		.amdhsa_exception_fp_ieee_overflow 0
		.amdhsa_exception_fp_ieee_underflow 0
		.amdhsa_exception_fp_ieee_inexact 0
		.amdhsa_exception_int_div_zero 0
	.end_amdhsa_kernel
	.text
.Lfunc_end0:
	.size	bluestein_single_back_len340_dim1_dp_op_CI_CI, .Lfunc_end0-bluestein_single_back_len340_dim1_dp_op_CI_CI
                                        ; -- End function
	.section	.AMDGPU.csdata,"",@progbits
; Kernel info:
; codeLenInByte = 26936
; NumSgprs: 66
; NumVgprs: 256
; ScratchSize: 608
; MemoryBound: 0
; FloatMode: 240
; IeeeMode: 1
; LDSByteSize: 16320 bytes/workgroup (compile time only)
; SGPRBlocks: 8
; VGPRBlocks: 31
; NumSGPRsForWavesPerEU: 66
; NumVGPRsForWavesPerEU: 256
; Occupancy: 4
; WaveLimiterHint : 1
; COMPUTE_PGM_RSRC2:SCRATCH_EN: 1
; COMPUTE_PGM_RSRC2:USER_SGPR: 6
; COMPUTE_PGM_RSRC2:TRAP_HANDLER: 0
; COMPUTE_PGM_RSRC2:TGID_X_EN: 1
; COMPUTE_PGM_RSRC2:TGID_Y_EN: 0
; COMPUTE_PGM_RSRC2:TGID_Z_EN: 0
; COMPUTE_PGM_RSRC2:TIDIG_COMP_CNT: 0
	.text
	.p2alignl 6, 3214868480
	.fill 48, 4, 3214868480
	.type	__hip_cuid_b664b1083c02a073,@object ; @__hip_cuid_b664b1083c02a073
	.section	.bss,"aw",@nobits
	.globl	__hip_cuid_b664b1083c02a073
__hip_cuid_b664b1083c02a073:
	.byte	0                               ; 0x0
	.size	__hip_cuid_b664b1083c02a073, 1

	.ident	"AMD clang version 19.0.0git (https://github.com/RadeonOpenCompute/llvm-project roc-6.4.0 25133 c7fe45cf4b819c5991fe208aaa96edf142730f1d)"
	.section	".note.GNU-stack","",@progbits
	.addrsig
	.addrsig_sym __hip_cuid_b664b1083c02a073
	.amdgpu_metadata
---
amdhsa.kernels:
  - .args:
      - .actual_access:  read_only
        .address_space:  global
        .offset:         0
        .size:           8
        .value_kind:     global_buffer
      - .actual_access:  read_only
        .address_space:  global
        .offset:         8
        .size:           8
        .value_kind:     global_buffer
      - .actual_access:  read_only
        .address_space:  global
        .offset:         16
        .size:           8
        .value_kind:     global_buffer
      - .actual_access:  read_only
        .address_space:  global
        .offset:         24
        .size:           8
        .value_kind:     global_buffer
      - .actual_access:  read_only
        .address_space:  global
        .offset:         32
        .size:           8
        .value_kind:     global_buffer
      - .offset:         40
        .size:           8
        .value_kind:     by_value
      - .address_space:  global
        .offset:         48
        .size:           8
        .value_kind:     global_buffer
      - .address_space:  global
        .offset:         56
        .size:           8
        .value_kind:     global_buffer
      - .address_space:  global
        .offset:         64
        .size:           8
        .value_kind:     global_buffer
      - .address_space:  global
        .offset:         72
        .size:           8
        .value_kind:     global_buffer
      - .offset:         80
        .size:           4
        .value_kind:     by_value
      - .address_space:  global
        .offset:         88
        .size:           8
        .value_kind:     global_buffer
      - .address_space:  global
        .offset:         96
        .size:           8
        .value_kind:     global_buffer
    .group_segment_fixed_size: 16320
    .kernarg_segment_align: 8
    .kernarg_segment_size: 104
    .language:       OpenCL C
    .language_version:
      - 2
      - 0
    .max_flat_workgroup_size: 102
    .name:           bluestein_single_back_len340_dim1_dp_op_CI_CI
    .private_segment_fixed_size: 608
    .sgpr_count:     66
    .sgpr_spill_count: 0
    .symbol:         bluestein_single_back_len340_dim1_dp_op_CI_CI.kd
    .uniform_work_group_size: 1
    .uses_dynamic_stack: false
    .vgpr_count:     256
    .vgpr_spill_count: 175
    .wavefront_size: 32
    .workgroup_processor_mode: 1
amdhsa.target:   amdgcn-amd-amdhsa--gfx1030
amdhsa.version:
  - 1
  - 2
...

	.end_amdgpu_metadata
